;; amdgpu-corpus repo=ROCm/rocFFT kind=compiled arch=gfx950 opt=O3
	.text
	.amdgcn_target "amdgcn-amd-amdhsa--gfx950"
	.amdhsa_code_object_version 6
	.protected	bluestein_single_fwd_len1904_dim1_half_op_CI_CI ; -- Begin function bluestein_single_fwd_len1904_dim1_half_op_CI_CI
	.globl	bluestein_single_fwd_len1904_dim1_half_op_CI_CI
	.p2align	8
	.type	bluestein_single_fwd_len1904_dim1_half_op_CI_CI,@function
bluestein_single_fwd_len1904_dim1_half_op_CI_CI: ; @bluestein_single_fwd_len1904_dim1_half_op_CI_CI
; %bb.0:
	s_load_dwordx4 s[8:11], s[0:1], 0x28
	v_mul_u32_u24_e32 v1, 0x227, v0
	v_mov_b32_e32 v29, 0
	v_add_u32_sdwa v32, s2, v1 dst_sel:DWORD dst_unused:UNUSED_PAD src0_sel:DWORD src1_sel:WORD_1
	v_mov_b32_e32 v33, v29
	s_waitcnt lgkmcnt(0)
	v_cmp_gt_u64_e32 vcc, s[8:9], v[32:33]
	s_and_saveexec_b64 s[2:3], vcc
	s_cbranch_execz .LBB0_23
; %bb.1:
	s_load_dwordx2 s[12:13], s[0:1], 0x0
	s_load_dwordx2 s[14:15], s[0:1], 0x38
	s_movk_i32 s2, 0x77
	v_mul_lo_u16_sdwa v1, v1, s2 dst_sel:DWORD dst_unused:UNUSED_PAD src0_sel:WORD_1 src1_sel:DWORD
	v_sub_u16_e32 v28, v0, v1
	s_movk_i32 s2, 0x70
	v_cmp_gt_u16_e32 vcc, s2, v28
	v_lshlrev_b32_e32 v30, 2, v28
	s_and_saveexec_b64 s[8:9], vcc
	s_cbranch_execz .LBB0_3
; %bb.2:
	s_load_dwordx2 s[2:3], s[0:1], 0x18
	v_mov_b32_e32 v0, s10
	v_mov_b32_e32 v1, s11
	;; [unrolled: 1-line block ×3, first 2 shown]
	s_waitcnt lgkmcnt(0)
	global_load_dword v12, v30, s[12:13]
	s_load_dwordx4 s[4:7], s[2:3], 0x0
	v_or_b32_e32 v27, 0x700, v28
	v_mov_b32_e32 v31, 0
	v_mov_b32_e32 v23, 0x380
	s_waitcnt lgkmcnt(0)
	v_mad_u64_u32 v[2:3], s[2:3], s6, v32, 0
	v_mad_u64_u32 v[4:5], s[2:3], s4, v28, 0
	v_mov_b32_e32 v6, v3
	v_mov_b32_e32 v8, v5
	v_mad_u64_u32 v[6:7], s[2:3], s7, v32, v[6:7]
	v_mov_b32_e32 v3, v6
	v_mad_u64_u32 v[6:7], s[2:3], s5, v28, v[8:9]
	v_mov_b32_e32 v5, v6
	v_lshl_add_u64 v[0:1], v[2:3], 2, v[0:1]
	v_lshl_add_u64 v[2:3], v[4:5], 2, v[0:1]
	global_load_dword v10, v[2:3], off
	v_mad_u64_u32 v[2:3], s[2:3], s4, v11, v[2:3]
	s_mul_i32 s6, s5, 0x1c0
	v_add_u32_e32 v3, s6, v3
	global_load_dword v13, v[2:3], off
	global_load_dword v14, v30, s[12:13] offset:448
	v_mad_u64_u32 v[2:3], s[2:3], s4, v11, v[2:3]
	v_add_u32_e32 v3, s6, v3
	global_load_dword v15, v[2:3], off
	global_load_dword v16, v30, s[12:13] offset:896
	v_mad_u64_u32 v[2:3], s[2:3], s4, v11, v[2:3]
	;; [unrolled: 4-line block ×3, first 2 shown]
	v_add_u32_e32 v3, s6, v3
	global_load_dword v19, v[2:3], off
	global_load_dword v20, v30, s[12:13] offset:1792
	global_load_dword v21, v30, s[12:13] offset:2240
	;; [unrolled: 1-line block ×3, first 2 shown]
	v_or_b32_e32 v9, 0x380, v28
	v_lshlrev_b32_e32 v6, 2, v27
	global_load_dword v24, v30, s[12:13] offset:3136
	global_load_dword v25, v30, s[12:13] offset:3584
	;; [unrolled: 1-line block ×3, first 2 shown]
	v_lshl_add_u64 v[4:5], s[12:13], 0, v[30:31]
	global_load_dword v31, v6, s[12:13]
	v_mad_u64_u32 v[6:7], s[2:3], s4, v9, 0
	v_mov_b32_e32 v8, v7
	v_mad_u64_u32 v[8:9], s[2:3], s5, v9, v[8:9]
	v_mov_b32_e32 v7, v8
	v_mad_u64_u32 v[2:3], s[2:3], s4, v11, v[2:3]
	v_lshl_add_u64 v[6:7], v[6:7], 2, v[0:1]
	v_add_u32_e32 v3, s6, v3
	global_load_dword v6, v[6:7], off
	s_mul_i32 s7, s5, 0x380
	global_load_dword v7, v[2:3], off
	v_mad_u64_u32 v[2:3], s[2:3], s4, v11, v[2:3]
	v_add_u32_e32 v3, s6, v3
	global_load_dword v8, v[2:3], off
	v_mad_u64_u32 v[2:3], s[2:3], s4, v11, v[2:3]
	v_add_u32_e32 v3, s6, v3
	;; [unrolled: 3-line block ×3, first 2 shown]
	global_load_dword v23, v[2:3], off
	v_mad_u64_u32 v[2:3], s[2:3], s4, v11, v[2:3]
	s_movk_i32 s2, 0x1000
	v_add_u32_e32 v3, s6, v3
	v_add_co_u32_e64 v4, s[2:3], s2, v4
	s_waitcnt vmcnt(19)
	v_lshrrev_b32_e32 v33, 16, v10
	v_mul_f16_sdwa v34, v12, v10 dst_sel:DWORD dst_unused:UNUSED_PAD src0_sel:WORD_1 src1_sel:DWORD
	v_mul_f16_sdwa v35, v12, v33 dst_sel:DWORD dst_unused:UNUSED_PAD src0_sel:WORD_1 src1_sel:DWORD
	v_fma_f16 v33, v12, v33, -v34
	v_fma_f16 v10, v12, v10, v35
	s_waitcnt vmcnt(18)
	v_lshrrev_b32_e32 v12, 16, v13
	s_waitcnt vmcnt(17)
	v_mul_f16_sdwa v34, v14, v13 dst_sel:DWORD dst_unused:UNUSED_PAD src0_sel:WORD_1 src1_sel:DWORD
	v_pack_b32_f16 v10, v10, v33
	v_mul_f16_sdwa v33, v14, v12 dst_sel:DWORD dst_unused:UNUSED_PAD src0_sel:WORD_1 src1_sel:DWORD
	v_fma_f16 v12, v14, v12, -v34
	v_fma_f16 v13, v14, v13, v33
	s_waitcnt vmcnt(16)
	v_lshrrev_b32_e32 v14, 16, v15
	s_waitcnt vmcnt(15)
	v_mul_f16_sdwa v33, v16, v15 dst_sel:DWORD dst_unused:UNUSED_PAD src0_sel:WORD_1 src1_sel:DWORD
	v_pack_b32_f16 v12, v13, v12
	v_mul_f16_sdwa v13, v16, v14 dst_sel:DWORD dst_unused:UNUSED_PAD src0_sel:WORD_1 src1_sel:DWORD
	v_fma_f16 v14, v16, v14, -v33
	ds_write2_b32 v30, v10, v12 offset1:112
	v_fma_f16 v10, v16, v15, v13
	s_waitcnt vmcnt(14)
	v_lshrrev_b32_e32 v12, 16, v17
	s_waitcnt vmcnt(13)
	v_mul_f16_sdwa v13, v18, v17 dst_sel:DWORD dst_unused:UNUSED_PAD src0_sel:WORD_1 src1_sel:DWORD
	v_pack_b32_f16 v10, v10, v14
	v_mul_f16_sdwa v14, v18, v12 dst_sel:DWORD dst_unused:UNUSED_PAD src0_sel:WORD_1 src1_sel:DWORD
	v_fma_f16 v12, v18, v12, -v13
	v_fma_f16 v13, v18, v17, v14
	global_load_dword v14, v[2:3], off
	v_addc_co_u32_e64 v5, s[2:3], 0, v5, s[2:3]
	global_load_dword v15, v[4:5], off offset:384
	v_mad_u64_u32 v[2:3], s[2:3], s4, v11, v[2:3]
	v_add_u32_e32 v3, s6, v3
	v_pack_b32_f16 v12, v13, v12
	global_load_dword v13, v[2:3], off
	global_load_dword v16, v[4:5], off offset:832
	v_add_u32_e32 v17, 0x200, v30
	v_mad_u64_u32 v[2:3], s[2:3], s4, v11, v[2:3]
	ds_write2_b32 v17, v10, v12 offset0:96 offset1:208
	v_add_u32_e32 v3, s6, v3
	global_load_dword v12, v[2:3], off
	global_load_dword v17, v[4:5], off offset:1280
	v_mad_u64_u32 v[2:3], s[2:3], s4, v11, v[2:3]
	v_add_u32_e32 v3, s6, v3
	s_waitcnt vmcnt(18)
	v_lshrrev_b32_e32 v10, 16, v19
	global_load_dword v33, v[2:3], off
	global_load_dword v34, v[4:5], off offset:1728
	s_waitcnt vmcnt(19)
	v_mul_f16_sdwa v18, v20, v10 dst_sel:DWORD dst_unused:UNUSED_PAD src0_sel:WORD_1 src1_sel:DWORD
	v_mad_u64_u32 v[2:3], s[2:3], s4, v11, v[2:3]
	v_fma_f16 v18, v20, v19, v18
	v_mul_f16_sdwa v19, v20, v19 dst_sel:DWORD dst_unused:UNUSED_PAD src0_sel:WORD_1 src1_sel:DWORD
	v_add_u32_e32 v3, s6, v3
	v_fma_f16 v10, v20, v10, -v19
	global_load_dword v19, v[2:3], off
	global_load_dword v20, v[4:5], off offset:2176
	v_mad_u64_u32 v[2:3], s[2:3], s4, v11, v[2:3]
	v_add_u32_e32 v3, s6, v3
	global_load_dword v11, v[2:3], off
	global_load_dword v35, v[4:5], off offset:2624
	v_mad_u64_u32 v[2:3], s[2:3], s4, v27, 0
	v_mov_b32_e32 v4, v3
	v_mad_u64_u32 v[4:5], s[2:3], s5, v27, v[4:5]
	v_mov_b32_e32 v3, v4
	v_lshl_add_u64 v[0:1], v[2:3], 2, v[0:1]
	global_load_dword v0, v[0:1], off
	s_waitcnt vmcnt(16)
	v_lshrrev_b32_e32 v2, 16, v7
	v_mul_f16_sdwa v3, v21, v2 dst_sel:DWORD dst_unused:UNUSED_PAD src0_sel:WORD_1 src1_sel:DWORD
	v_mul_f16_sdwa v4, v21, v7 dst_sel:DWORD dst_unused:UNUSED_PAD src0_sel:WORD_1 src1_sel:DWORD
	v_fma_f16 v3, v21, v7, v3
	v_fma_f16 v2, v21, v2, -v4
	v_pack_b32_f16 v1, v18, v10
	v_pack_b32_f16 v2, v3, v2
	v_add_u32_e32 v3, 0x600, v30
	ds_write2_b32 v3, v1, v2 offset0:64 offset1:176
	s_waitcnt vmcnt(15)
	v_lshrrev_b32_e32 v1, 16, v8
	v_mul_f16_sdwa v2, v22, v1 dst_sel:DWORD dst_unused:UNUSED_PAD src0_sel:WORD_1 src1_sel:DWORD
	v_mul_f16_sdwa v3, v22, v8 dst_sel:DWORD dst_unused:UNUSED_PAD src0_sel:WORD_1 src1_sel:DWORD
	v_fma_f16 v2, v22, v8, v2
	v_fma_f16 v1, v22, v1, -v3
	v_pack_b32_f16 v1, v2, v1
	s_waitcnt vmcnt(14)
	v_lshrrev_b32_e32 v2, 16, v9
	v_mul_f16_sdwa v3, v24, v2 dst_sel:DWORD dst_unused:UNUSED_PAD src0_sel:WORD_1 src1_sel:DWORD
	v_mul_f16_sdwa v4, v24, v9 dst_sel:DWORD dst_unused:UNUSED_PAD src0_sel:WORD_1 src1_sel:DWORD
	v_fma_f16 v3, v24, v9, v3
	v_fma_f16 v2, v24, v2, -v4
	v_pack_b32_f16 v2, v3, v2
	v_add_u32_e32 v3, 0xa00, v30
	ds_write2_b32 v3, v1, v2 offset0:32 offset1:144
	v_lshrrev_b32_e32 v1, 16, v6
	v_mul_f16_sdwa v2, v25, v1 dst_sel:DWORD dst_unused:UNUSED_PAD src0_sel:WORD_1 src1_sel:DWORD
	v_mul_f16_sdwa v3, v25, v6 dst_sel:DWORD dst_unused:UNUSED_PAD src0_sel:WORD_1 src1_sel:DWORD
	v_fma_f16 v2, v25, v6, v2
	v_fma_f16 v1, v25, v1, -v3
	v_pack_b32_f16 v1, v2, v1
	s_waitcnt vmcnt(13)
	v_lshrrev_b32_e32 v2, 16, v23
	v_mul_f16_sdwa v3, v26, v2 dst_sel:DWORD dst_unused:UNUSED_PAD src0_sel:WORD_1 src1_sel:DWORD
	v_mul_f16_sdwa v4, v26, v23 dst_sel:DWORD dst_unused:UNUSED_PAD src0_sel:WORD_1 src1_sel:DWORD
	v_fma_f16 v3, v26, v23, v3
	v_fma_f16 v2, v26, v2, -v4
	v_pack_b32_f16 v2, v3, v2
	v_add_u32_e32 v3, 0xc00, v30
	ds_write2_b32 v3, v1, v2 offset0:128 offset1:240
	s_waitcnt vmcnt(12)
	v_lshrrev_b32_e32 v1, 16, v14
	s_waitcnt vmcnt(11)
	v_mul_f16_sdwa v2, v15, v1 dst_sel:DWORD dst_unused:UNUSED_PAD src0_sel:WORD_1 src1_sel:DWORD
	v_mul_f16_sdwa v3, v15, v14 dst_sel:DWORD dst_unused:UNUSED_PAD src0_sel:WORD_1 src1_sel:DWORD
	v_fma_f16 v2, v15, v14, v2
	v_fma_f16 v1, v15, v1, -v3
	v_pack_b32_f16 v1, v2, v1
	s_waitcnt vmcnt(10)
	v_lshrrev_b32_e32 v2, 16, v13
	s_waitcnt vmcnt(9)
	v_mul_f16_sdwa v3, v16, v2 dst_sel:DWORD dst_unused:UNUSED_PAD src0_sel:WORD_1 src1_sel:DWORD
	v_mul_f16_sdwa v4, v16, v13 dst_sel:DWORD dst_unused:UNUSED_PAD src0_sel:WORD_1 src1_sel:DWORD
	v_fma_f16 v3, v16, v13, v3
	v_fma_f16 v2, v16, v2, -v4
	v_pack_b32_f16 v2, v3, v2
	v_add_u32_e32 v3, 0x1000, v30
	ds_write2_b32 v3, v1, v2 offset0:96 offset1:208
	s_waitcnt vmcnt(8)
	v_lshrrev_b32_e32 v1, 16, v12
	s_waitcnt vmcnt(7)
	v_mul_f16_sdwa v2, v17, v1 dst_sel:DWORD dst_unused:UNUSED_PAD src0_sel:WORD_1 src1_sel:DWORD
	v_mul_f16_sdwa v3, v17, v12 dst_sel:DWORD dst_unused:UNUSED_PAD src0_sel:WORD_1 src1_sel:DWORD
	v_fma_f16 v2, v17, v12, v2
	v_fma_f16 v1, v17, v1, -v3
	v_pack_b32_f16 v1, v2, v1
	s_waitcnt vmcnt(6)
	v_lshrrev_b32_e32 v2, 16, v33
	s_waitcnt vmcnt(5)
	v_mul_f16_sdwa v3, v34, v2 dst_sel:DWORD dst_unused:UNUSED_PAD src0_sel:WORD_1 src1_sel:DWORD
	v_mul_f16_sdwa v4, v34, v33 dst_sel:DWORD dst_unused:UNUSED_PAD src0_sel:WORD_1 src1_sel:DWORD
	v_fma_f16 v3, v34, v33, v3
	v_fma_f16 v2, v34, v2, -v4
	v_pack_b32_f16 v2, v3, v2
	v_add_u32_e32 v3, 0x1400, v30
	ds_write2_b32 v3, v1, v2 offset0:64 offset1:176
	s_waitcnt vmcnt(4)
	v_lshrrev_b32_e32 v1, 16, v19
	s_waitcnt vmcnt(3)
	v_mul_f16_sdwa v2, v20, v1 dst_sel:DWORD dst_unused:UNUSED_PAD src0_sel:WORD_1 src1_sel:DWORD
	v_mul_f16_sdwa v3, v20, v19 dst_sel:DWORD dst_unused:UNUSED_PAD src0_sel:WORD_1 src1_sel:DWORD
	v_fma_f16 v2, v20, v19, v2
	v_fma_f16 v1, v20, v1, -v3
	v_pack_b32_f16 v1, v2, v1
	s_waitcnt vmcnt(2)
	v_lshrrev_b32_e32 v2, 16, v11
	s_waitcnt vmcnt(1)
	v_mul_f16_sdwa v3, v35, v2 dst_sel:DWORD dst_unused:UNUSED_PAD src0_sel:WORD_1 src1_sel:DWORD
	v_mul_f16_sdwa v4, v35, v11 dst_sel:DWORD dst_unused:UNUSED_PAD src0_sel:WORD_1 src1_sel:DWORD
	v_fma_f16 v3, v35, v11, v3
	v_fma_f16 v2, v35, v2, -v4
	v_pack_b32_f16 v2, v3, v2
	v_add_u32_e32 v3, 0x1800, v30
	ds_write2_b32 v3, v1, v2 offset0:32 offset1:144
	s_waitcnt vmcnt(0)
	v_lshrrev_b32_e32 v1, 16, v0
	v_mul_f16_sdwa v2, v31, v1 dst_sel:DWORD dst_unused:UNUSED_PAD src0_sel:WORD_1 src1_sel:DWORD
	v_fma_f16 v2, v31, v0, v2
	v_mul_f16_sdwa v0, v31, v0 dst_sel:DWORD dst_unused:UNUSED_PAD src0_sel:WORD_1 src1_sel:DWORD
	v_fma_f16 v0, v31, v1, -v0
	v_pack_b32_f16 v0, v2, v0
	ds_write_b32 v30, v0 offset:7168
.LBB0_3:
	s_or_b64 exec, exec, s[8:9]
	s_load_dwordx2 s[2:3], s[0:1], 0x20
	s_load_dwordx2 s[4:5], s[0:1], 0x8
	v_mov_b32_e32 v0, 0
	s_waitcnt lgkmcnt(0)
	s_barrier
	s_waitcnt lgkmcnt(0)
                                        ; implicit-def: $vgpr38
                                        ; implicit-def: $vgpr27
                                        ; implicit-def: $vgpr15
                                        ; implicit-def: $vgpr33
                                        ; implicit-def: $vgpr35
                                        ; implicit-def: $vgpr13
                                        ; implicit-def: $vgpr36
                                        ; implicit-def: $vgpr37
                                        ; implicit-def: $vgpr11
                                        ; implicit-def: $vgpr34
                                        ; implicit-def: $vgpr21
                                        ; implicit-def: $vgpr9
                                        ; implicit-def: $vgpr22
                                        ; implicit-def: $vgpr23
                                        ; implicit-def: $vgpr7
                                        ; implicit-def: $vgpr24
                                        ; implicit-def: $vgpr25
                                        ; implicit-def: $vgpr5
                                        ; implicit-def: $vgpr16
                                        ; implicit-def: $vgpr17
                                        ; implicit-def: $vgpr3
                                        ; implicit-def: $vgpr18
                                        ; implicit-def: $vgpr19
                                        ; implicit-def: $vgpr20
	s_and_saveexec_b64 s[0:1], vcc
	s_cbranch_execz .LBB0_5
; %bb.4:
	v_add_u32_e32 v2, 0x200, v30
	v_add_u32_e32 v4, 0x600, v30
	;; [unrolled: 1-line block ×7, first 2 shown]
	ds_read2_b32 v[0:1], v30 offset1:112
	ds_read2_b32 v[2:3], v2 offset0:96 offset1:208
	ds_read2_b32 v[4:5], v4 offset0:64 offset1:176
	;; [unrolled: 1-line block ×7, first 2 shown]
	ds_read_b32 v38, v30 offset:7168
	s_waitcnt lgkmcnt(8)
	v_lshrrev_b32_e32 v20, 16, v1
	s_waitcnt lgkmcnt(7)
	v_lshrrev_b32_e32 v19, 16, v2
	v_lshrrev_b32_e32 v18, 16, v3
	s_waitcnt lgkmcnt(6)
	v_lshrrev_b32_e32 v17, 16, v4
	;; [unrolled: 3-line block ×8, first 2 shown]
.LBB0_5:
	s_or_b64 exec, exec, s[0:1]
	v_sub_f16_e32 v101, v20, v27
	v_add_f16_e32 v41, v38, v1
	v_sub_f16_e32 v58, v1, v38
	s_movk_i32 s6, 0x3b76
	v_mul_f16_e32 v39, 0xb5c8, v101
	v_sub_f16_e32 v102, v19, v33
	v_add_f16_e32 v43, v27, v20
	v_mul_f16_e32 v46, 0xb5c8, v58
	v_fma_f16 v26, v41, s6, v39
	v_add_f16_e32 v44, v15, v2
	v_sub_f16_e32 v62, v2, v15
	s_movk_i32 s7, 0x39e9
	v_mul_f16_e32 v40, 0xb964, v102
	v_add_f16_e32 v26, v26, v0
	v_fma_f16 v31, v43, s6, -v46
	v_add_f16_e32 v47, v33, v19
	v_mul_f16_e32 v50, 0xb964, v62
	v_fma_f16 v42, v44, s7, v40
	v_add_f16_sdwa v31, v31, v0 dst_sel:DWORD dst_unused:UNUSED_PAD src0_sel:DWORD src1_sel:WORD_1
	v_add_f16_e32 v26, v42, v26
	v_fma_f16 v42, v47, s7, -v50
	v_sub_f16_e32 v103, v18, v35
	v_add_f16_e32 v31, v42, v31
	v_add_f16_e32 v48, v14, v3
	v_sub_f16_e32 v65, v3, v14
	s_movk_i32 s8, 0x3722
	v_mul_f16_e32 v42, 0xbb29, v103
	v_add_f16_e32 v51, v35, v18
	v_mul_f16_e32 v53, 0xbb29, v65
	v_fma_f16 v45, v48, s8, v42
	v_add_f16_e32 v26, v45, v26
	v_fma_f16 v45, v51, s8, -v53
	v_sub_f16_e32 v104, v17, v36
	v_add_f16_e32 v31, v45, v31
	v_add_f16_e32 v54, v13, v4
	v_sub_f16_e32 v68, v4, v13
	s_movk_i32 s9, 0x2de8
	v_mul_f16_e32 v45, 0xbbf7, v104
	v_add_f16_e32 v55, v36, v17
	v_mul_f16_e32 v52, 0xbbf7, v68
	v_fma_f16 v49, v54, s9, v45
	v_add_f16_e32 v26, v49, v26
	v_fma_f16 v49, v55, s9, -v52
	v_sub_f16_e32 v105, v16, v37
	v_add_f16_e32 v31, v49, v31
	v_add_f16_e32 v57, v12, v5
	s_mov_b32 s10, 0xb461
	v_mul_f16_e32 v49, 0xbbb2, v105
	v_sub_f16_e32 v75, v5, v12
	v_fma_f16 v56, v57, s10, v49
	v_add_f16_e32 v60, v37, v16
	v_mul_f16_e32 v59, 0xbbb2, v75
	v_add_f16_e32 v26, v56, v26
	v_fma_f16 v56, v60, s10, -v59
	v_sub_f16_e32 v106, v25, v34
	v_add_f16_e32 v31, v56, v31
	s_mov_b32 s11, 0xb8d2
	v_add_f16_e32 v64, v11, v6
	v_mul_f16_e32 v56, 0xba62, v106
	v_sub_f16_e32 v77, v6, v11
	v_fma_f16 v61, v64, s11, v56
	v_add_f16_e32 v66, v34, v25
	v_mul_f16_e32 v63, 0xba62, v77
	v_add_f16_e32 v26, v61, v26
	v_fma_f16 v61, v66, s11, -v63
	v_sub_f16_e32 v107, v24, v21
	v_add_f16_e32 v31, v61, v31
	s_mov_b32 s16, 0xbacd
	v_add_f16_e32 v70, v10, v7
	;; [unrolled: 11-line block ×3, first 2 shown]
	v_mul_f16_e32 v67, 0xb1e1, v108
	v_sub_f16_e32 v81, v8, v9
	v_fma_f16 v71, v74, s17, v67
	v_add_f16_e32 v76, v22, v23
	v_mul_f16_e32 v73, 0xb1e1, v81
	v_add_f16_e32 v26, v71, v26
	v_fma_f16 v71, v76, s17, -v73
	v_add_f16_e32 v31, v71, v31
	s_mov_b32 s22, 0xb5c8
	s_mov_b32 s20, 0xb964
	;; [unrolled: 1-line block ×8, first 2 shown]
	s_barrier
	s_and_saveexec_b64 s[0:1], vcc
	s_cbranch_execz .LBB0_7
; %bb.6:
	v_mul_f16_e32 v84, 0x39e9, v43
	s_movk_i32 s25, 0x3964
	v_fma_f16 v71, v58, s25, v84
	v_mul_f16_e32 v85, 0x2de8, v47
	s_movk_i32 s33, 0x3bf7
	v_add_f16_sdwa v71, v71, v0 dst_sel:DWORD dst_unused:UNUSED_PAD src0_sel:DWORD src1_sel:WORD_1
	v_fma_f16 v78, v62, s33, v85
	v_mul_f16_e32 v86, 0xb8d2, v51
	s_movk_i32 s29, 0x3a62
	v_add_f16_e32 v71, v78, v71
	v_fma_f16 v78, v65, s29, v86
	v_mul_f16_e32 v87, 0xbbdd, v55
	s_movk_i32 s26, 0x31e1
	v_add_f16_e32 v71, v78, v71
	v_fma_f16 v78, v68, s26, v87
	v_mul_f16_e32 v88, 0xbacd, v60
	v_add_f16_e32 v71, v78, v71
	v_fma_f16 v78, v75, s23, v88
	v_mul_f16_e32 v89, 0xb461, v66
	;; [unrolled: 3-line block ×12, first 2 shown]
	v_add_f16_e32 v78, v80, v78
	v_fma_f16 v80, v74, s6, v100
	s_movk_i32 s27, 0x3b29
	v_mul_f16_e32 v109, 0x3722, v43
	v_add_f16_e32 v78, v80, v78
	v_fma_f16 v80, v58, s27, v109
	v_mul_f16_e32 v110, 0xb8d2, v47
	v_add_f16_sdwa v80, v80, v0 dst_sel:DWORD dst_unused:UNUSED_PAD src0_sel:DWORD src1_sel:WORD_1
	v_fma_f16 v82, v62, s29, v110
	v_mul_f16_e32 v111, 0xbbdd, v51
	v_add_f16_e32 v80, v82, v80
	v_fma_f16 v82, v65, s19, v111
	v_mul_f16_e32 v112, 0xb461, v55
	v_add_f16_e32 v80, v82, v80
	;; [unrolled: 3-line block ×3, first 2 shown]
	v_fma_f16 v82, v75, s20, v113
	s_movk_i32 s28, 0x35c8
	v_mul_f16_e32 v114, 0x3b76, v66
	v_add_f16_e32 v80, v82, v80
	v_fma_f16 v82, v77, s28, v114
	v_mul_f16_e32 v115, 0x2de8, v72
	v_add_f16_e32 v80, v82, v80
	v_fma_f16 v82, v79, s33, v115
	s_movk_i32 s31, 0x3836
	v_mul_f16_e32 v116, 0xbacd, v76
	v_add_f16_e32 v80, v82, v80
	v_fma_f16 v82, v81, s31, v116
	v_mul_f16_e32 v117, 0xbb29, v101
	v_add_f16_e32 v80, v82, v80
	v_fma_f16 v82, v41, s8, v117
	;; [unrolled: 3-line block ×10, first 2 shown]
	v_mul_f16_e32 v126, 0xbbdd, v47
	v_add_f16_sdwa v83, v83, v0 dst_sel:DWORD dst_unused:UNUSED_PAD src0_sel:DWORD src1_sel:WORD_1
	v_fma_f16 v99, v62, s26, v126
	v_mul_f16_e32 v127, 0xb461, v51
	v_add_f16_e32 v83, v99, v83
	v_fma_f16 v99, v65, s30, v127
	v_mul_f16_e32 v128, 0x3b76, v55
	v_add_f16_e32 v83, v99, v83
	;; [unrolled: 3-line block ×8, first 2 shown]
	v_fma_f16 v135, v44, s17, v134
	v_add_f16_e32 v99, v135, v99
	v_mul_f16_e32 v135, 0x3bb2, v103
	v_fma_f16 v136, v48, s10, v135
	v_add_f16_e32 v99, v136, v99
	v_mul_f16_e32 v136, 0x35c8, v104
	;; [unrolled: 3-line block ×6, first 2 shown]
	v_fma_f16 v141, v74, s7, v140
	v_add_f16_e32 v99, v141, v99
	s_movk_i32 s34, 0x3bb2
	v_mul_f16_e32 v141, 0xb461, v43
	v_fma_f16 v142, v58, s34, v141
	v_mul_f16_e32 v143, 0xbacd, v47
	v_add_f16_sdwa v142, v142, v0 dst_sel:DWORD dst_unused:UNUSED_PAD src0_sel:DWORD src1_sel:WORD_1
	v_fma_f16 v144, v62, s23, v143
	v_add_f16_e32 v142, v144, v142
	v_mul_f16_e32 v144, 0x39e9, v51
	v_fma_f16 v145, v65, s20, v144
	v_add_f16_e32 v142, v145, v142
	v_mul_f16_e32 v145, 0x3722, v55
	v_fma_f16 v146, v68, s27, v145
	v_add_f16_e32 v142, v146, v142
	v_mul_f16_e32 v146, 0xbbdd, v60
	v_fma_f16 v147, v75, s26, v146
	v_add_f16_e32 v142, v147, v142
	v_mul_f16_e32 v147, 0x2de8, v66
	v_fma_f16 v148, v77, s21, v147
	v_add_f16_e32 v142, v148, v142
	v_mul_f16_e32 v148, 0x3b76, v72
	v_fma_f16 v149, v79, s28, v148
	v_add_f16_e32 v142, v149, v142
	v_mul_f16_e32 v149, 0xb8d2, v76
	v_fma_f16 v150, v81, s29, v149
	v_add_f16_e32 v142, v150, v142
	v_mul_f16_e32 v150, 0xbbb2, v101
	v_fma_f16 v151, v41, s10, v150
	v_mul_f16_e32 v152, 0x3836, v102
	v_add_f16_e32 v151, v151, v0
	v_fma_f16 v153, v44, s16, v152
	v_add_f16_e32 v151, v153, v151
	v_mul_f16_e32 v153, 0x3964, v103
	v_fma_f16 v154, v48, s7, v153
	v_add_f16_e32 v151, v154, v151
	v_mul_f16_e32 v154, 0xbb29, v104
	v_fma_f16 v155, v54, s8, v154
	v_add_f16_e32 v151, v155, v151
	v_mul_f16_e32 v155, 0xb1e1, v105
	v_fma_f16 v156, v57, s17, v155
	v_add_f16_e32 v151, v156, v151
	v_mul_f16_e32 v156, 0x3bf7, v106
	v_fma_f16 v157, v64, s9, v156
	v_add_f16_e32 v151, v157, v151
	v_mul_f16_e32 v157, 0xb5c8, v107
	v_fma_f16 v158, v70, s6, v157
	v_add_f16_e32 v151, v158, v151
	v_mul_f16_e32 v158, 0xba62, v108
	v_fma_f16 v159, v74, s11, v158
	v_add_f16_e32 v151, v159, v151
	v_mul_f16_e32 v159, 0xb8d2, v43
	v_fma_f16 v160, v58, s29, v159
	v_mul_f16_e32 v161, 0xb461, v47
	v_add_f16_sdwa v160, v160, v0 dst_sel:DWORD dst_unused:UNUSED_PAD src0_sel:DWORD src1_sel:WORD_1
	v_fma_f16 v162, v62, s30, v161
	v_add_f16_e32 v160, v162, v160
	v_mul_f16_e32 v162, 0x3b76, v51
	v_fma_f16 v163, v65, s28, v162
	v_add_f16_e32 v160, v163, v160
	v_mul_f16_e32 v163, 0xbacd, v55
	v_fma_f16 v164, v68, s31, v163
	v_add_f16_e32 v160, v164, v160
	v_mul_f16_e32 v164, 0x2de8, v60
	v_fma_f16 v165, v75, s21, v164
	v_add_f16_e32 v160, v165, v160
	v_mul_f16_e32 v165, 0x39e9, v66
	v_fma_f16 v166, v77, s25, v165
	v_add_f16_e32 v160, v166, v160
	v_mul_f16_e32 v166, 0xbbdd, v72
	v_fma_f16 v167, v79, s26, v166
	v_add_f16_e32 v160, v167, v160
	v_mul_f16_e32 v167, 0x3722, v76
	v_fma_f16 v168, v81, s24, v167
	v_add_f16_e32 v160, v168, v160
	v_mul_f16_e32 v168, 0xba62, v101
	v_fma_f16 v169, v41, s11, v168
	v_mul_f16_e32 v170, 0x3bb2, v102
	v_add_f16_e32 v169, v169, v0
	v_fma_f16 v171, v44, s10, v170
	v_add_f16_e32 v169, v171, v169
	v_mul_f16_e32 v171, 0xb5c8, v103
	v_fma_f16 v172, v48, s6, v171
	v_add_f16_e32 v169, v172, v169
	v_mul_f16_e32 v172, 0xb836, v104
	v_fma_f16 v173, v54, s16, v172
	v_add_f16_e32 v169, v173, v169
	v_mul_f16_e32 v173, 0x3bf7, v105
	v_fma_f16 v174, v57, s9, v173
	v_add_f16_e32 v169, v174, v169
	v_mul_f16_e32 v174, 0xb964, v106
	v_fma_f16 v175, v64, s7, v174
	v_add_f16_e32 v169, v175, v169
	v_mul_f16_e32 v175, 0xb1e1, v107
	v_fma_f16 v176, v70, s17, v175
	v_add_f16_e32 v169, v176, v169
	v_mul_f16_e32 v176, 0x3b29, v108
	v_fma_f16 v177, v74, s8, v176
	v_add_f16_e32 v169, v177, v169
	;; [unrolled: 48-line block ×3, first 2 shown]
	v_mul_f16_e32 v195, 0xbbdd, v43
	v_fma_f16 v196, v58, s26, v195
	v_mul_f16_e32 v197, 0x3b76, v47
	v_add_f16_sdwa v196, v196, v0 dst_sel:DWORD dst_unused:UNUSED_PAD src0_sel:DWORD src1_sel:WORD_1
	v_fma_f16 v198, v62, s22, v197
	v_add_f16_e32 v196, v198, v196
	v_mul_f16_e32 v198, 0xbacd, v51
	v_fma_f16 v199, v65, s31, v198
	v_add_f16_e32 v196, v199, v196
	v_mul_f16_e32 v199, 0x39e9, v55
	;; [unrolled: 3-line block ×6, first 2 shown]
	v_fma_f16 v204, v81, s21, v203
	v_mul_f16_e32 v101, 0xb1e1, v101
	v_add_f16_e32 v196, v204, v196
	v_fma_f16 v204, v41, s17, v101
	v_mul_f16_e32 v102, 0x35c8, v102
	v_fma_f16 v101, v41, s17, -v101
	v_fma_f16 v205, v44, s6, v102
	v_mul_f16_e32 v103, 0xb836, v103
	v_add_f16_e32 v101, v101, v0
	v_fma_f16 v102, v44, s6, -v102
	v_mul_f16_e32 v104, 0x3964, v104
	v_add_f16_e32 v101, v102, v101
	v_fma_f16 v102, v48, s16, -v103
	;; [unrolled: 3-line block ×6, first 2 shown]
	v_add_f16_e32 v101, v102, v101
	v_fma_f16 v102, v74, s9, -v108
	v_add_f16_e32 v204, v204, v0
	v_add_f16_e32 v101, v102, v101
	v_fma_f16 v102, v58, s23, v177
	v_add_f16_e32 v204, v205, v204
	v_fma_f16 v205, v48, s16, v103
	v_add_f16_sdwa v102, v102, v0 dst_sel:DWORD dst_unused:UNUSED_PAD src0_sel:DWORD src1_sel:WORD_1
	v_fma_f16 v103, v62, s27, v179
	v_add_f16_e32 v102, v103, v102
	v_fma_f16 v103, v65, s21, v180
	v_add_f16_e32 v102, v103, v102
	v_fma_f16 v103, v68, s29, v181
	v_add_f16_e32 v102, v103, v102
	v_fma_f16 v103, v75, s22, v182
	v_add_f16_e32 v102, v103, v102
	v_fma_f16 v103, v77, s19, v183
	v_add_f16_e32 v102, v103, v102
	v_fma_f16 v103, v79, s25, v184
	v_add_f16_e32 v102, v103, v102
	v_fma_f16 v103, v81, s30, v185
	v_add_f16_e32 v102, v103, v102
	v_fma_f16 v103, v41, s16, -v186
	v_add_f16_e32 v204, v205, v204
	v_fma_f16 v205, v54, s7, v104
	v_add_f16_e32 v103, v103, v0
	v_fma_f16 v104, v44, s8, -v188
	v_add_f16_e32 v103, v104, v103
	v_fma_f16 v104, v48, s9, -v189
	v_add_f16_e32 v103, v104, v103
	v_fma_f16 v104, v54, s11, -v190
	v_add_f16_e32 v103, v104, v103
	v_fma_f16 v104, v57, s6, -v191
	v_add_f16_e32 v103, v104, v103
	v_fma_f16 v104, v64, s17, -v192
	v_add_f16_e32 v103, v104, v103
	v_fma_f16 v104, v70, s7, -v193
	v_add_f16_e32 v103, v104, v103
	v_fma_f16 v104, v74, s10, -v194
	v_add_f16_e32 v103, v104, v103
	v_fma_f16 v104, v58, s18, v159
	v_add_f16_e32 v204, v205, v204
	v_fma_f16 v205, v57, s11, v105
	v_add_f16_sdwa v104, v104, v0 dst_sel:DWORD dst_unused:UNUSED_PAD src0_sel:DWORD src1_sel:WORD_1
	v_fma_f16 v105, v62, s34, v161
	v_add_f16_e32 v104, v105, v104
	v_fma_f16 v105, v65, s22, v162
	v_add_f16_e32 v104, v105, v104
	v_fma_f16 v105, v68, s23, v163
	v_add_f16_e32 v104, v105, v104
	v_fma_f16 v105, v75, s33, v164
	v_add_f16_e32 v104, v105, v104
	v_fma_f16 v105, v77, s20, v165
	v_add_f16_e32 v104, v105, v104
	v_fma_f16 v105, v79, s19, v166
	v_add_f16_e32 v104, v105, v104
	v_fma_f16 v105, v81, s27, v167
	v_add_f16_e32 v104, v105, v104
	v_fma_f16 v105, v41, s11, -v168
	v_add_f16_e32 v204, v205, v204
	v_fma_f16 v205, v64, s8, v106
	v_add_f16_e32 v105, v105, v0
	v_fma_f16 v106, v44, s10, -v170
	v_add_f16_e32 v105, v106, v105
	v_fma_f16 v106, v48, s6, -v171
	v_add_f16_e32 v105, v106, v105
	v_fma_f16 v106, v54, s16, -v172
	v_add_f16_e32 v105, v106, v105
	v_fma_f16 v106, v57, s9, -v173
	v_add_f16_e32 v105, v106, v105
	v_fma_f16 v106, v64, s7, -v174
	v_add_f16_e32 v105, v106, v105
	v_fma_f16 v106, v70, s17, -v175
	v_add_f16_e32 v105, v106, v105
	v_fma_f16 v106, v74, s8, -v176
	;; [unrolled: 36-line block ×3, first 2 shown]
	v_fma_f16 v195, v58, s19, v195
	v_add_f16_e32 v107, v108, v107
	v_fma_f16 v108, v58, s21, v125
	v_fma_f16 v109, v58, s24, v109
	;; [unrolled: 1-line block ×4, first 2 shown]
	v_add_f16_sdwa v108, v108, v0 dst_sel:DWORD dst_unused:UNUSED_PAD src0_sel:DWORD src1_sel:WORD_1
	v_fma_f16 v125, v62, s19, v126
	v_add_f16_sdwa v109, v109, v0 dst_sel:DWORD dst_unused:UNUSED_PAD src0_sel:DWORD src1_sel:WORD_1
	v_fma_f16 v110, v62, s18, v110
	v_fma_f16 v62, v62, s21, v85
	v_add_f16_sdwa v58, v58, v0 dst_sel:DWORD dst_unused:UNUSED_PAD src0_sel:DWORD src1_sel:WORD_1
	v_add_f16_e32 v108, v125, v108
	v_fma_f16 v125, v65, s34, v127
	v_add_f16_e32 v109, v110, v109
	v_fma_f16 v110, v65, s26, v111
	v_add_f16_e32 v58, v62, v58
	v_fma_f16 v62, v65, s18, v86
	v_add_f16_e32 v108, v125, v108
	v_fma_f16 v125, v68, s28, v128
	v_add_f16_e32 v109, v110, v109
	v_fma_f16 v110, v68, s34, v112
	v_add_f16_e32 v58, v62, v58
	v_fma_f16 v62, v68, s19, v87
	v_add_f16_e32 v108, v125, v108
	v_fma_f16 v125, v75, s24, v129
	v_add_f16_e32 v109, v110, v109
	v_fma_f16 v110, v75, s25, v113
	v_add_f16_e32 v58, v62, v58
	v_fma_f16 v62, v75, s31, v88
	v_add_f16_e32 v108, v125, v108
	v_fma_f16 v125, v77, s23, v130
	v_add_f16_e32 v109, v110, v109
	v_fma_f16 v110, v77, s22, v114
	v_add_f16_e32 v58, v62, v58
	v_fma_f16 v62, v77, s34, v89
	v_add_f16_e32 v108, v125, v108
	v_fma_f16 v125, v79, s29, v131
	v_add_f16_e32 v109, v110, v109
	v_fma_f16 v110, v79, s21, v115
	v_add_f16_e32 v58, v62, v58
	v_fma_f16 v62, v79, s27, v90
	v_add_f16_e32 v108, v125, v108
	v_fma_f16 v125, v81, s25, v132
	v_add_f16_e32 v109, v110, v109
	v_fma_f16 v110, v81, s23, v116
	v_add_f16_e32 v58, v62, v58
	v_fma_f16 v62, v81, s28, v91
	v_add_f16_e32 v108, v125, v108
	v_fma_f16 v125, v41, s9, -v133
	v_add_f16_e32 v109, v110, v109
	v_fma_f16 v110, v41, s8, -v117
	;; [unrolled: 2-line block ×3, first 2 shown]
	v_mul_f16_e32 v43, 0x3b76, v43
	v_mul_f16_e32 v41, 0x3b76, v41
	v_add_f16_e32 v43, v46, v43
	v_sub_f16_e32 v39, v41, v39
	v_add_f16_sdwa v195, v195, v0 dst_sel:DWORD dst_unused:UNUSED_PAD src0_sel:DWORD src1_sel:WORD_1
	v_add_f16_e32 v125, v125, v0
	v_add_f16_e32 v110, v110, v0
	;; [unrolled: 1-line block ×3, first 2 shown]
	v_add_f16_sdwa v43, v43, v0 dst_sel:DWORD dst_unused:UNUSED_PAD src0_sel:DWORD src1_sel:WORD_1
	v_add_f16_e32 v39, v39, v0
	v_add_f16_e32 v1, v1, v0
	v_add_f16_sdwa v0, v20, v0 dst_sel:DWORD dst_unused:UNUSED_PAD src0_sel:DWORD src1_sel:WORD_1
	v_add_f16_e32 v1, v2, v1
	v_add_f16_e32 v0, v19, v0
	;; [unrolled: 1-line block ×6, first 2 shown]
	v_mul_f16_e32 v46, 0x39e9, v47
	v_add_f16_e32 v1, v5, v1
	v_add_f16_e32 v0, v16, v0
	;; [unrolled: 1-line block ×6, first 2 shown]
	v_mul_f16_e32 v46, 0x3722, v51
	v_add_f16_e32 v1, v7, v1
	v_add_f16_e32 v0, v24, v0
	;; [unrolled: 1-line block ×3, first 2 shown]
	v_fma_f16 v197, v65, s23, v198
	v_fma_f16 v126, v44, s17, -v134
	v_fma_f16 v111, v44, s11, -v118
	v_fma_f16 v65, v44, s9, -v93
	v_add_f16_e32 v46, v53, v46
	v_mul_f16_e32 v44, 0x39e9, v44
	v_add_f16_e32 v1, v8, v1
	v_add_f16_e32 v0, v23, v0
	;; [unrolled: 1-line block ×3, first 2 shown]
	v_mul_f16_e32 v46, 0x3722, v48
	v_sub_f16_e32 v40, v44, v40
	v_add_f16_e32 v1, v9, v1
	v_add_f16_e32 v0, v22, v0
	;; [unrolled: 1-line block ×3, first 2 shown]
	v_fma_f16 v126, v48, s10, -v135
	v_add_f16_e32 v110, v111, v110
	v_fma_f16 v111, v48, s17, -v119
	v_add_f16_e32 v62, v65, v62
	v_fma_f16 v65, v48, s11, -v94
	v_mul_f16_e32 v47, 0x2de8, v54
	v_mul_f16_e32 v48, 0x2de8, v55
	v_add_f16_e32 v39, v40, v39
	v_sub_f16_e32 v40, v46, v42
	v_add_f16_e32 v1, v10, v1
	v_add_f16_e32 v0, v21, v0
	v_mul_f16_e32 v50, 0xb461, v57
	v_mul_f16_e32 v51, 0xb461, v60
	v_add_f16_e32 v48, v52, v48
	v_add_f16_e32 v39, v40, v39
	v_sub_f16_e32 v40, v47, v45
	v_add_f16_e32 v1, v11, v1
	v_add_f16_e32 v0, v34, v0
	v_add_f16_e32 v125, v126, v125
	v_fma_f16 v126, v54, s6, -v136
	v_add_f16_e32 v110, v111, v110
	v_fma_f16 v111, v54, s10, -v120
	v_add_f16_e32 v62, v65, v62
	v_fma_f16 v65, v54, s17, -v95
	v_mul_f16_e32 v53, 0xb8d2, v64
	v_mul_f16_e32 v54, 0xb8d2, v66
	v_add_f16_e32 v43, v48, v43
	v_add_f16_e32 v48, v59, v51
	v_add_f16_e32 v39, v40, v39
	v_sub_f16_e32 v40, v50, v49
	v_add_f16_e32 v1, v12, v1
	v_add_f16_e32 v0, v37, v0
	v_add_f16_e32 v125, v126, v125
	v_fma_f16 v126, v57, s8, -v137
	v_add_f16_e32 v110, v111, v110
	v_fma_f16 v111, v57, s7, -v121
	v_add_f16_e32 v62, v65, v62
	v_fma_f16 v65, v57, s16, -v96
	v_mul_f16_e32 v55, 0xbacd, v70
	v_mul_f16_e32 v57, 0xbacd, v72
	v_add_f16_e32 v43, v48, v43
	v_add_f16_e32 v48, v63, v54
	v_add_f16_e32 v39, v40, v39
	v_sub_f16_e32 v40, v53, v56
	v_add_f16_e32 v1, v13, v1
	v_add_f16_e32 v0, v36, v0
	v_add_f16_e32 v125, v126, v125
	v_fma_f16 v126, v64, s16, -v138
	v_add_f16_e32 v110, v111, v110
	v_fma_f16 v111, v64, s6, -v122
	v_add_f16_e32 v62, v65, v62
	v_fma_f16 v65, v64, s10, -v97
	v_mul_f16_e32 v60, 0xbbdd, v74
	v_mul_f16_e32 v64, 0xbbdd, v76
	v_add_f16_e32 v43, v48, v43
	v_add_f16_e32 v48, v69, v57
	v_add_f16_e32 v39, v40, v39
	v_sub_f16_e32 v40, v55, v61
	v_add_f16_e32 v1, v14, v1
	v_add_f16_e32 v0, v35, v0
	v_add_f16_e32 v195, v197, v195
	v_fma_f16 v197, v68, s25, v199
	v_add_f16_e32 v110, v111, v110
	v_fma_f16 v111, v70, s9, -v123
	v_add_f16_e32 v62, v65, v62
	v_fma_f16 v65, v70, s8, -v98
	v_add_f16_e32 v43, v48, v43
	v_add_f16_e32 v48, v73, v64
	;; [unrolled: 1-line block ×3, first 2 shown]
	v_sub_f16_e32 v40, v60, v67
	v_add_f16_e32 v1, v15, v1
	v_add_f16_e32 v0, v33, v0
	;; [unrolled: 1-line block ×3, first 2 shown]
	v_fma_f16 v197, v75, s18, v200
	v_add_f16_e32 v125, v126, v125
	v_fma_f16 v126, v70, s11, -v139
	v_add_f16_e32 v110, v111, v110
	v_fma_f16 v111, v74, s16, -v124
	;; [unrolled: 2-line block ×3, first 2 shown]
	v_add_f16_e32 v43, v48, v43
	v_add_f16_e32 v39, v40, v39
	;; [unrolled: 1-line block ×4, first 2 shown]
	v_mul_lo_u16_e32 v2, 17, v28
	v_add_f16_e32 v195, v197, v195
	v_fma_f16 v197, v77, s27, v201
	v_add_f16_e32 v125, v126, v125
	v_fma_f16 v126, v74, s7, -v140
	v_add_f16_e32 v110, v111, v110
	v_add_f16_e32 v62, v65, v62
	v_lshlrev_b32_e32 v2, 2, v2
	v_pack_b32_f16 v3, v39, v43
	v_pack_b32_f16 v0, v1, v0
	v_add_f16_e32 v195, v197, v195
	v_fma_f16 v197, v79, s30, v202
	v_add_f16_e32 v125, v126, v125
	ds_write2_b32 v2, v0, v3 offset1:1
	v_pack_b32_f16 v0, v110, v109
	v_pack_b32_f16 v1, v62, v58
	v_add_f16_e32 v195, v197, v195
	v_fma_f16 v197, v81, s33, v203
	ds_write2_b32 v2, v1, v0 offset0:2 offset1:3
	v_pack_b32_f16 v0, v107, v106
	v_pack_b32_f16 v1, v125, v108
	v_add_f16_e32 v204, v205, v204
	v_add_f16_e32 v195, v197, v195
	ds_write2_b32 v2, v1, v0 offset0:4 offset1:5
	v_pack_b32_f16 v0, v103, v102
	v_pack_b32_f16 v1, v105, v104
	ds_write2_b32 v2, v1, v0 offset0:6 offset1:7
	v_pack_b32_f16 v0, v204, v196
	v_pack_b32_f16 v1, v101, v195
	;; [unrolled: 3-line block ×5, first 2 shown]
	s_mov_b32 s6, 0x5040100
	ds_write2_b32 v2, v1, v0 offset0:14 offset1:15
	v_perm_b32 v0, v31, v26, s6
	ds_write_b32 v2, v0 offset:64
.LBB0_7:
	s_or_b64 exec, exec, s[0:1]
	s_mov_b64 s[0:1], 0x165
	v_lshl_add_u64 v[8:9], v[28:29], 0, s[0:1]
	s_mov_b64 s[0:1], 0x1dc
	v_lshl_add_u64 v[4:5], v[28:29], 0, s[0:1]
	;; [unrolled: 2-line block ×5, first 2 shown]
	s_movk_i32 s0, 0xf1
	v_mul_lo_u16_sdwa v5, v28, s0 dst_sel:DWORD dst_unused:UNUSED_PAD src0_sel:BYTE_0 src1_sel:DWORD
	v_lshrrev_b16_e32 v7, 12, v5
	v_mul_lo_u16_e32 v1, 17, v7
	v_sub_u16_e32 v1, v28, v1
	v_and_b32_e32 v34, 0xff, v1
	v_add_u16_e32 v1, 0x77, v28
	v_mul_lo_u16_sdwa v35, v1, s0 dst_sel:DWORD dst_unused:UNUSED_PAD src0_sel:BYTE_0 src1_sel:DWORD
	v_lshrrev_b16_e32 v36, 12, v35
	v_mul_lo_u16_e32 v3, 17, v36
	v_sub_u16_e32 v3, v1, v3
	v_and_b32_e32 v37, 0xff, v3
	v_add_u16_e32 v3, 0xee, v28
	v_lshlrev_b32_e32 v10, 2, v34
	v_mul_u32_u24_e32 v9, 0xf0f1, v3
	s_load_dwordx4 s[8:11], s[2:3], 0x0
	s_waitcnt lgkmcnt(0)
	s_barrier
	s_mov_b32 s0, 0xf0f1
	v_lshrrev_b32_e32 v38, 20, v9
	global_load_dword v29, v10, s[4:5]
	v_lshlrev_b32_e32 v11, 2, v37
	global_load_dword v33, v11, s[4:5]
	v_mul_lo_u16_e32 v12, 17, v38
	v_mul_u32_u24_sdwa v40, v8, s0 dst_sel:DWORD dst_unused:UNUSED_PAD src0_sel:WORD_0 src1_sel:DWORD
	v_sub_u16_e32 v39, v3, v12
	v_lshrrev_b32_e32 v41, 20, v40
	v_lshlrev_b32_e32 v12, 2, v39
	global_load_dword v56, v12, s[4:5]
	v_mul_lo_u16_e32 v13, 17, v41
	v_mul_u32_u24_sdwa v43, v4, s0 dst_sel:DWORD dst_unused:UNUSED_PAD src0_sel:WORD_0 src1_sel:DWORD
	v_sub_u16_e32 v42, v8, v13
	v_lshrrev_b32_e32 v44, 20, v43
	v_lshlrev_b32_e32 v10, 2, v42
	v_mul_lo_u16_e32 v11, 17, v44
	v_mul_u32_u24_sdwa v46, v6, s0 dst_sel:DWORD dst_unused:UNUSED_PAD src0_sel:WORD_0 src1_sel:DWORD
	v_sub_u16_e32 v45, v4, v11
	v_lshrrev_b32_e32 v47, 20, v46
	global_load_dword v57, v10, s[4:5]
	v_mul_u32_u24_sdwa v49, v0, s0 dst_sel:DWORD dst_unused:UNUSED_PAD src0_sel:WORD_0 src1_sel:DWORD
	v_lshlrev_b32_e32 v11, 2, v45
	global_load_dword v58, v11, s[4:5]
	v_mul_lo_u16_e32 v12, 17, v47
	v_lshrrev_b32_e32 v50, 20, v49
	v_sub_u16_e32 v48, v6, v12
	v_mul_lo_u16_e32 v11, 17, v50
	v_lshlrev_b32_e32 v10, 2, v48
	v_sub_u16_e32 v51, v0, v11
	v_mul_u32_u24_sdwa v52, v2, s0 dst_sel:DWORD dst_unused:UNUSED_PAD src0_sel:WORD_0 src1_sel:DWORD
	global_load_dword v59, v10, s[4:5]
	v_lshlrev_b32_e32 v10, 2, v51
	v_lshrrev_b32_e32 v53, 20, v52
	global_load_dword v60, v10, s[4:5]
	v_mul_lo_u16_e32 v10, 17, v53
	v_sub_u16_e32 v54, v2, v10
	v_lshlrev_b32_e32 v10, 2, v54
	global_load_dword v61, v10, s[4:5]
	v_mov_b32_e32 v10, 2
	v_lshlrev_b32_sdwa v27, v10, v28 dst_sel:DWORD dst_unused:UNUSED_PAD src0_sel:DWORD src1_sel:WORD_0
	v_add_u32_e32 v55, 0xe00, v27
	ds_read2_b32 v[12:13], v55 offset0:56 offset1:175
	v_add_u32_e32 v79, 0x1200, v27
	ds_read2_b32 v[16:17], v79 offset0:38 offset1:157
	;; [unrolled: 2-line block ×3, first 2 shown]
	s_waitcnt lgkmcnt(2)
	v_lshrrev_b32_e32 v63, 16, v12
	v_lshrrev_b32_e32 v65, 16, v13
	s_waitcnt lgkmcnt(1)
	v_lshrrev_b32_e32 v67, 16, v16
	v_lshrrev_b32_e32 v69, 16, v17
	v_add_u32_e32 v86, 0x1800, v27
	ds_read2_b32 v[24:25], v86 offset0:130 offset1:249
	s_waitcnt lgkmcnt(1)
	v_lshrrev_b32_e32 v71, 16, v20
	v_lshrrev_b32_e32 v73, 16, v21
	ds_read2_b32 v[10:11], v27 offset1:119
	v_add_u32_e32 v78, 0x200, v27
	s_waitcnt lgkmcnt(1)
	v_lshrrev_b32_e32 v75, 16, v24
	v_lshrrev_b32_e32 v77, 16, v25
	ds_read2_b32 v[14:15], v78 offset0:110 offset1:229
	s_waitcnt lgkmcnt(1)
	v_lshrrev_b32_e32 v62, 16, v10
	v_mul_lo_u16_e32 v7, 34, v7
	v_lshrrev_b32_e32 v64, 16, v11
	v_add_u32_e32 v80, 0x600, v27
	v_and_b32_e32 v7, 0xfe, v7
	ds_read2_b32 v[18:19], v80 offset0:92 offset1:211
	v_add_u32_e32 v82, 0xa00, v27
	v_add_lshl_u32 v160, v7, v34, 2
	s_waitcnt lgkmcnt(1)
	v_lshrrev_b32_e32 v66, 16, v14
	ds_read2_b32 v[22:23], v82 offset0:74 offset1:193
	s_waitcnt lgkmcnt(0)
	s_barrier
	v_lshrrev_b32_e32 v68, 16, v15
	v_lshrrev_b32_e32 v70, 16, v18
	;; [unrolled: 1-line block ×6, first 2 shown]
	s_movk_i32 s6, 0x44
	v_cmp_gt_u16_e64 s[0:1], 34, v28
	s_waitcnt vmcnt(7)
	v_mul_f16_sdwa v83, v63, v29 dst_sel:DWORD dst_unused:UNUSED_PAD src0_sel:DWORD src1_sel:WORD_1
	v_fma_f16 v83, v12, v29, -v83
	v_mul_f16_sdwa v12, v12, v29 dst_sel:DWORD dst_unused:UNUSED_PAD src0_sel:DWORD src1_sel:WORD_1
	v_fma_f16 v12, v63, v29, v12
	s_waitcnt vmcnt(6)
	v_mul_f16_sdwa v63, v65, v33 dst_sel:DWORD dst_unused:UNUSED_PAD src0_sel:DWORD src1_sel:WORD_1
	v_fma_f16 v63, v13, v33, -v63
	v_mul_f16_sdwa v13, v13, v33 dst_sel:DWORD dst_unused:UNUSED_PAD src0_sel:DWORD src1_sel:WORD_1
	v_fma_f16 v13, v65, v33, v13
	;; [unrolled: 5-line block ×3, first 2 shown]
	v_sub_f16_e32 v12, v62, v12
	v_sub_f16_e32 v84, v11, v63
	;; [unrolled: 1-line block ×3, first 2 shown]
	v_fma_f16 v11, v11, 2.0, -v84
	v_fma_f16 v64, v64, 2.0, -v13
	v_sub_f16_e32 v65, v14, v65
	s_waitcnt vmcnt(4)
	v_mul_f16_sdwa v67, v69, v57 dst_sel:DWORD dst_unused:UNUSED_PAD src0_sel:DWORD src1_sel:WORD_1
	v_fma_f16 v67, v17, v57, -v67
	v_mul_f16_sdwa v17, v17, v57 dst_sel:DWORD dst_unused:UNUSED_PAD src0_sel:DWORD src1_sel:WORD_1
	v_fma_f16 v17, v69, v57, v17
	s_waitcnt vmcnt(3)
	v_mul_f16_sdwa v69, v71, v58 dst_sel:DWORD dst_unused:UNUSED_PAD src0_sel:DWORD src1_sel:WORD_1
	v_fma_f16 v69, v20, v58, -v69
	v_mul_f16_sdwa v20, v20, v58 dst_sel:DWORD dst_unused:UNUSED_PAD src0_sel:DWORD src1_sel:WORD_1
	v_fma_f16 v20, v71, v58, v20
	v_sub_f16_e32 v16, v66, v16
	v_fma_f16 v14, v14, 2.0, -v65
	v_fma_f16 v66, v66, 2.0, -v16
	s_waitcnt vmcnt(2)
	v_mul_f16_sdwa v71, v73, v59 dst_sel:DWORD dst_unused:UNUSED_PAD src0_sel:DWORD src1_sel:WORD_1
	v_fma_f16 v71, v21, v59, -v71
	v_mul_f16_sdwa v21, v21, v59 dst_sel:DWORD dst_unused:UNUSED_PAD src0_sel:DWORD src1_sel:WORD_1
	v_fma_f16 v21, v73, v59, v21
	s_waitcnt vmcnt(1)
	v_mul_f16_sdwa v73, v75, v60 dst_sel:DWORD dst_unused:UNUSED_PAD src0_sel:DWORD src1_sel:WORD_1
	v_fma_f16 v73, v24, v60, -v73
	v_mul_f16_sdwa v24, v24, v60 dst_sel:DWORD dst_unused:UNUSED_PAD src0_sel:DWORD src1_sel:WORD_1
	v_fma_f16 v24, v75, v60, v24
	;; [unrolled: 5-line block ×3, first 2 shown]
	v_sub_f16_e32 v77, v10, v83
	v_fma_f16 v10, v10, 2.0, -v77
	v_fma_f16 v83, v62, 2.0, -v12
	v_pack_b32_f16 v7, v10, v83
	v_pack_b32_f16 v10, v77, v12
	ds_write2_b32 v160, v7, v10 offset1:17
	v_mul_u32_u24_e32 v7, 34, v36
	v_add_lshl_u32 v161, v7, v37, 2
	v_pack_b32_f16 v7, v11, v64
	v_pack_b32_f16 v10, v84, v13
	ds_write2_b32 v161, v7, v10 offset1:17
	v_mad_legacy_u16 v7, v38, 34, v39
	v_sub_f16_e32 v67, v15, v67
	v_sub_f16_e32 v17, v68, v17
	v_lshlrev_b32_e32 v162, 2, v7
	v_pack_b32_f16 v7, v14, v66
	v_pack_b32_f16 v10, v65, v16
	v_fma_f16 v15, v15, 2.0, -v67
	v_fma_f16 v68, v68, 2.0, -v17
	ds_write2_b32 v162, v7, v10 offset1:17
	v_mad_legacy_u16 v7, v41, 34, v42
	v_sub_f16_e32 v69, v18, v69
	v_sub_f16_e32 v20, v70, v20
	v_lshlrev_b32_e32 v163, 2, v7
	v_pack_b32_f16 v7, v15, v68
	v_pack_b32_f16 v10, v67, v17
	v_fma_f16 v18, v18, 2.0, -v69
	v_fma_f16 v70, v70, 2.0, -v20
	;; [unrolled: 9-line block ×4, first 2 shown]
	ds_write2_b32 v165, v7, v10 offset1:17
	v_mad_legacy_u16 v7, v50, 34, v51
	v_sub_f16_e32 v75, v23, v75
	v_sub_f16_e32 v25, v76, v25
	v_lshlrev_b32_e32 v166, 2, v7
	v_pack_b32_f16 v7, v22, v74
	v_pack_b32_f16 v10, v73, v24
	v_lshrrev_b16_e32 v22, 13, v5
	v_fma_f16 v23, v23, 2.0, -v75
	v_fma_f16 v76, v76, 2.0, -v25
	ds_write2_b32 v166, v7, v10 offset1:17
	v_mad_legacy_u16 v7, v53, 34, v54
	v_mul_lo_u16_e32 v5, 34, v22
	v_lshlrev_b32_e32 v167, 2, v7
	v_pack_b32_f16 v7, v23, v76
	v_pack_b32_f16 v10, v75, v25
	v_sub_u16_e32 v5, v28, v5
	v_lshrrev_b16_e32 v24, 13, v35
	ds_write2_b32 v167, v7, v10 offset1:17
	v_and_b32_e32 v23, 0xff, v5
	v_mul_lo_u16_e32 v7, 34, v24
	v_lshlrev_b32_e32 v5, 2, v23
	v_sub_u16_e32 v7, v1, v7
	v_mul_lo_u16_e32 v10, 34, v34
	s_waitcnt lgkmcnt(0)
	s_barrier
	v_and_b32_e32 v25, 0xff, v7
	v_sub_u16_e32 v35, v3, v10
	global_load_dword v70, v5, s[4:5] offset:68
	v_lshlrev_b32_e32 v7, 2, v25
	v_lshlrev_b32_e32 v5, 2, v35
	v_lshrrev_b32_e32 v37, 21, v43
	v_lshrrev_b32_e32 v36, 21, v40
	global_load_dword v71, v7, s[4:5] offset:68
	global_load_dword v72, v5, s[4:5] offset:68
	v_mul_lo_u16_e32 v5, 34, v37
	v_mul_lo_u16_e32 v10, 34, v36
	v_sub_u16_e32 v38, v4, v5
	v_sub_u16_e32 v8, v8, v10
	v_lshlrev_b32_e32 v4, 2, v38
	global_load_dword v74, v4, s[4:5] offset:68
	v_lshlrev_b32_e32 v7, 2, v8
	global_load_dword v73, v7, s[4:5] offset:68
	v_lshrrev_b32_e32 v39, 21, v46
	v_mul_lo_u16_e32 v5, 34, v39
	v_lshrrev_b32_e32 v45, 21, v49
	v_sub_u16_e32 v44, v6, v5
	v_mul_lo_u16_e32 v5, 34, v45
	v_lshlrev_b32_e32 v4, 2, v44
	global_load_dword v75, v4, s[4:5] offset:68
	v_sub_u16_e32 v0, v0, v5
	v_lshlrev_b32_e32 v4, 2, v0
	v_lshrrev_b32_e32 v46, 21, v52
	global_load_dword v76, v4, s[4:5] offset:68
	v_mul_lo_u16_e32 v4, 34, v46
	v_sub_u16_e32 v2, v2, v4
	v_lshlrev_b32_e32 v4, 2, v2
	global_load_dword v77, v4, s[4:5] offset:68
	ds_read2_b32 v[4:5], v27 offset1:119
	ds_read2_b32 v[6:7], v55 offset0:56 offset1:175
	ds_read2_b32 v[12:13], v79 offset0:38 offset1:157
	;; [unrolled: 1-line block ×5, first 2 shown]
	s_waitcnt lgkmcnt(4)
	v_lshrrev_b32_e32 v41, 16, v6
	v_lshrrev_b32_e32 v43, 16, v7
	s_waitcnt lgkmcnt(3)
	v_lshrrev_b32_e32 v48, 16, v12
	v_lshrrev_b32_e32 v50, 16, v13
	ds_read2_b32 v[18:19], v82 offset0:74 offset1:193
	ds_read2_b32 v[20:21], v86 offset0:130 offset1:249
	s_waitcnt lgkmcnt(4)
	v_lshrrev_b32_e32 v52, 16, v16
	v_lshrrev_b32_e32 v54, 16, v17
	;; [unrolled: 1-line block ×3, first 2 shown]
	s_waitcnt lgkmcnt(1)
	v_lshrrev_b32_e32 v79, 16, v19
	s_waitcnt lgkmcnt(0)
	v_lshrrev_b32_e32 v78, 16, v20
	v_lshrrev_b32_e32 v80, 16, v21
	;; [unrolled: 1-line block ×4, first 2 shown]
	s_barrier
	v_lshrrev_b32_e32 v49, 16, v11
	v_lshrrev_b32_e32 v51, 16, v14
	;; [unrolled: 1-line block ×4, first 2 shown]
	v_mad_legacy_u16 v0, v45, s6, v0
	v_lshlrev_b32_e32 v174, 2, v0
                                        ; implicit-def: $vgpr45
	s_waitcnt vmcnt(7)
	v_mul_f16_sdwa v81, v41, v70 dst_sel:DWORD dst_unused:UNUSED_PAD src0_sel:DWORD src1_sel:WORD_1
	v_fma_f16 v81, v6, v70, -v81
	v_mul_f16_sdwa v6, v6, v70 dst_sel:DWORD dst_unused:UNUSED_PAD src0_sel:DWORD src1_sel:WORD_1
	v_fma_f16 v6, v41, v70, v6
	v_sub_f16_e32 v6, v40, v6
	s_waitcnt vmcnt(6)
	v_mul_f16_sdwa v41, v43, v71 dst_sel:DWORD dst_unused:UNUSED_PAD src0_sel:DWORD src1_sel:WORD_1
	v_fma_f16 v41, v7, v71, -v41
	v_mul_f16_sdwa v7, v7, v71 dst_sel:DWORD dst_unused:UNUSED_PAD src0_sel:DWORD src1_sel:WORD_1
	v_fma_f16 v7, v43, v71, v7
	s_waitcnt vmcnt(5)
	v_mul_f16_sdwa v43, v48, v72 dst_sel:DWORD dst_unused:UNUSED_PAD src0_sel:DWORD src1_sel:WORD_1
	v_fma_f16 v43, v12, v72, -v43
	v_mul_f16_sdwa v12, v12, v72 dst_sel:DWORD dst_unused:UNUSED_PAD src0_sel:DWORD src1_sel:WORD_1
	v_fma_f16 v12, v48, v72, v12
	v_sub_f16_e32 v84, v10, v43
	s_waitcnt vmcnt(3)
	v_mul_f16_sdwa v48, v50, v73 dst_sel:DWORD dst_unused:UNUSED_PAD src0_sel:DWORD src1_sel:WORD_1
	v_fma_f16 v48, v13, v73, -v48
	v_mul_f16_sdwa v13, v13, v73 dst_sel:DWORD dst_unused:UNUSED_PAD src0_sel:DWORD src1_sel:WORD_1
	v_fma_f16 v13, v50, v73, v13
	v_mul_f16_sdwa v50, v52, v74 dst_sel:DWORD dst_unused:UNUSED_PAD src0_sel:DWORD src1_sel:WORD_1
	v_fma_f16 v50, v16, v74, -v50
	v_mul_f16_sdwa v16, v16, v74 dst_sel:DWORD dst_unused:UNUSED_PAD src0_sel:DWORD src1_sel:WORD_1
	v_fma_f16 v16, v52, v74, v16
	s_waitcnt vmcnt(2)
	v_mul_f16_sdwa v52, v54, v75 dst_sel:DWORD dst_unused:UNUSED_PAD src0_sel:DWORD src1_sel:WORD_1
	v_fma_f16 v52, v17, v75, -v52
	v_mul_f16_sdwa v17, v17, v75 dst_sel:DWORD dst_unused:UNUSED_PAD src0_sel:DWORD src1_sel:WORD_1
	v_fma_f16 v17, v54, v75, v17
	s_waitcnt vmcnt(1)
	;; [unrolled: 5-line block ×3, first 2 shown]
	v_mul_f16_sdwa v78, v80, v77 dst_sel:DWORD dst_unused:UNUSED_PAD src0_sel:DWORD src1_sel:WORD_1
	v_fma_f16 v78, v21, v77, -v78
	v_mul_f16_sdwa v21, v21, v77 dst_sel:DWORD dst_unused:UNUSED_PAD src0_sel:DWORD src1_sel:WORD_1
	v_sub_f16_e32 v43, v19, v78
	v_fma_f16 v21, v80, v77, v21
	v_sub_f16_e32 v80, v4, v81
	v_fma_f16 v81, v40, 2.0, -v6
	v_fma_f16 v40, v19, 2.0, -v43
	v_mul_lo_u16_e32 v19, 0x44, v22
	v_fma_f16 v4, v4, 2.0, -v80
	v_and_b32_e32 v19, 0xfc, v19
	v_sub_f16_e32 v82, v5, v41
	v_sub_f16_e32 v7, v42, v7
	v_add_lshl_u32 v168, v19, v23, 2
	v_pack_b32_f16 v4, v4, v81
	v_pack_b32_f16 v6, v80, v6
	v_fma_f16 v5, v5, 2.0, -v82
	v_fma_f16 v83, v42, 2.0, -v7
	ds_write2_b32 v168, v4, v6 offset1:34
	v_mul_u32_u24_e32 v4, 0x44, v24
	v_sub_f16_e32 v12, v47, v12
	v_add_lshl_u32 v169, v4, v25, 2
	v_pack_b32_f16 v4, v5, v83
	v_pack_b32_f16 v5, v82, v7
	v_fma_f16 v10, v10, 2.0, -v84
	v_fma_f16 v47, v47, 2.0, -v12
	ds_write2_b32 v169, v4, v5 offset1:34
	v_mad_legacy_u16 v4, v34, s6, v35
	v_sub_f16_e32 v48, v11, v48
	v_sub_f16_e32 v13, v49, v13
	v_lshlrev_b32_e32 v170, 2, v4
	v_pack_b32_f16 v4, v10, v47
	v_pack_b32_f16 v5, v84, v12
	v_fma_f16 v11, v11, 2.0, -v48
	v_fma_f16 v49, v49, 2.0, -v13
	ds_write2_b32 v170, v4, v5 offset1:34
	v_mad_legacy_u16 v4, v36, s6, v8
	v_sub_f16_e32 v50, v14, v50
	v_sub_f16_e32 v16, v51, v16
	v_lshlrev_b32_e32 v171, 2, v4
	;; [unrolled: 9-line block ×3, first 2 shown]
	v_pack_b32_f16 v4, v14, v51
	v_pack_b32_f16 v5, v50, v16
	v_fma_f16 v15, v15, 2.0, -v52
	v_fma_f16 v53, v53, 2.0, -v17
	v_sub_f16_e32 v54, v18, v54
	v_sub_f16_e32 v20, v55, v20
	ds_write2_b32 v172, v4, v5 offset1:34
	v_mad_legacy_u16 v4, v39, s6, v44
	v_fma_f16 v18, v18, 2.0, -v54
	v_fma_f16 v55, v55, 2.0, -v20
	v_lshlrev_b32_e32 v173, 2, v4
	v_pack_b32_f16 v4, v15, v53
	v_pack_b32_f16 v5, v52, v17
	v_sub_f16_e32 v42, v79, v21
	ds_write2_b32 v173, v4, v5 offset1:34
	v_pack_b32_f16 v0, v18, v55
	v_pack_b32_f16 v4, v54, v20
	v_fma_f16 v41, v79, 2.0, -v42
	ds_write2_b32 v174, v0, v4 offset1:34
	v_mad_legacy_u16 v0, v46, s6, v2
	v_lshlrev_b32_e32 v175, 2, v0
	v_pack_b32_f16 v0, v40, v41
	v_pack_b32_f16 v2, v43, v42
	ds_write2_b32 v175, v0, v2 offset1:34
	v_add_u32_e32 v0, 0x400, v27
	s_waitcnt lgkmcnt(0)
	s_barrier
	ds_read2_b32 v[14:15], v0 offset0:16 offset1:135
	v_add_u32_e32 v0, 0x800, v27
	ds_read2_b32 v[16:17], v0 offset0:32 offset1:151
	v_add_u32_e32 v0, 0xc00, v27
	;; [unrolled: 2-line block ×4, first 2 shown]
	ds_read2_b32 v[12:13], v27 offset1:119
	ds_read2_b32 v[22:23], v0 offset0:80 offset1:199
	ds_read2_b32 v[24:25], v86 offset0:96 offset1:215
                                        ; implicit-def: $vgpr44
                                        ; implicit-def: $vgpr50
                                        ; implicit-def: $vgpr48
                                        ; implicit-def: $vgpr46
                                        ; implicit-def: $vgpr49
                                        ; implicit-def: $vgpr47
                                        ; implicit-def: $vgpr51
	s_and_saveexec_b64 s[2:3], s[0:1]
	s_cbranch_execz .LBB0_9
; %bb.8:
	ds_read_b32 v40, v27 offset:952
	ds_read_b32 v43, v27 offset:2040
	;; [unrolled: 1-line block ×7, first 2 shown]
	s_waitcnt lgkmcnt(6)
	v_lshrrev_b32_e32 v41, 16, v40
	s_waitcnt lgkmcnt(5)
	v_lshrrev_b32_e32 v42, 16, v43
	;; [unrolled: 2-line block ×7, first 2 shown]
.LBB0_9:
	s_or_b64 exec, exec, s[2:3]
	v_add_u32_e32 v0, 0xffffffbc, v28
	v_cmp_gt_u16_e64 s[2:3], s6, v28
	s_waitcnt lgkmcnt(6)
	v_lshrrev_b32_e32 v88, 16, v15
	s_waitcnt lgkmcnt(1)
	v_lshrrev_b32_e32 v86, 16, v22
	v_cndmask_b32_e64 v92, v0, v28, s[2:3]
	s_movk_i32 s2, 0x79
	v_lshrrev_b32_e32 v0, 22, v9
	v_mul_lo_u16_sdwa v2, v1, s2 dst_sel:DWORD dst_unused:UNUSED_PAD src0_sel:BYTE_0 src1_sel:DWORD
	v_mul_lo_u16_e32 v0, 0x44, v0
	v_lshrrev_b16_e32 v93, 13, v2
	v_sub_u16_e32 v96, v3, v0
	v_mul_hi_i32_i24_e32 v5, 24, v92
	v_mul_i32_i24_e32 v4, 24, v92
	v_mov_b32_e32 v9, 0
	v_mul_lo_u16_e32 v0, 0x44, v93
	v_mul_lo_u16_e32 v8, 24, v96
	v_lshl_add_u64 v[10:11], s[4:5], 0, v[4:5]
	v_sub_u16_e32 v0, v1, v0
	v_lshl_add_u64 v[52:53], s[4:5], 0, v[8:9]
	global_load_dwordx4 v[4:7], v[10:11], off offset:204
	global_load_dwordx2 v[36:37], v[10:11], off offset:220
	v_and_b32_e32 v97, 0xff, v0
	global_load_dwordx4 v[0:3], v[52:53], off offset:204
	v_mad_u64_u32 v[54:55], s[2:3], v97, 24, s[4:5]
	global_load_dwordx4 v[8:11], v[54:55], off offset:204
	global_load_dwordx2 v[38:39], v[54:55], off offset:220
	global_load_dwordx2 v[34:35], v[52:53], off offset:220
	v_lshrrev_b32_e32 v52, 16, v14
	v_lshrrev_b32_e32 v53, 16, v16
	s_waitcnt lgkmcnt(0)
	v_lshrrev_b32_e32 v87, 16, v24
	v_lshrrev_b32_e32 v54, 16, v18
	;; [unrolled: 1-line block ×8, first 2 shown]
	s_movk_i32 s2, 0x2b26
	s_movk_i32 s3, 0x3b00
	s_mov_b32 s6, 0xbcab
	s_movk_i32 s7, 0x39e0
	s_mov_b32 s16, 0xb9e0
	;; [unrolled: 2-line block ×3, first 2 shown]
	s_movk_i32 s19, 0x370e
	s_barrier
	v_lshlrev_b32_e32 v159, 2, v96
	s_waitcnt vmcnt(5)
	v_mul_f16_sdwa v98, v52, v4 dst_sel:DWORD dst_unused:UNUSED_PAD src0_sel:DWORD src1_sel:WORD_1
	v_mul_f16_sdwa v99, v14, v4 dst_sel:DWORD dst_unused:UNUSED_PAD src0_sel:DWORD src1_sel:WORD_1
	v_fma_f16 v14, v14, v4, -v98
	s_waitcnt vmcnt(3)
	v_mul_f16_sdwa v98, v42, v0 dst_sel:DWORD dst_unused:UNUSED_PAD src0_sel:DWORD src1_sel:WORD_1
	v_mul_f16_sdwa v100, v53, v5 dst_sel:DWORD dst_unused:UNUSED_PAD src0_sel:DWORD src1_sel:WORD_1
	v_fma_f16 v52, v52, v4, v99
	v_mul_f16_sdwa v99, v43, v0 dst_sel:DWORD dst_unused:UNUSED_PAD src0_sel:DWORD src1_sel:WORD_1
	v_fma_f16 v43, v43, v0, -v98
	s_waitcnt vmcnt(2)
	v_mul_f16_sdwa v98, v88, v8 dst_sel:DWORD dst_unused:UNUSED_PAD src0_sel:DWORD src1_sel:WORD_1
	v_mul_f16_sdwa v101, v16, v5 dst_sel:DWORD dst_unused:UNUSED_PAD src0_sel:DWORD src1_sel:WORD_1
	v_fma_f16 v16, v16, v5, -v100
	v_mul_f16_sdwa v100, v15, v8 dst_sel:DWORD dst_unused:UNUSED_PAD src0_sel:DWORD src1_sel:WORD_1
	v_fma_f16 v15, v15, v8, -v98
	;; [unrolled: 2-line block ×3, first 2 shown]
	v_mul_f16_sdwa v26, v26, v1 dst_sel:DWORD dst_unused:UNUSED_PAD src0_sel:DWORD src1_sel:WORD_1
	v_fma_f16 v26, v31, v1, v26
	v_mul_f16_sdwa v31, v50, v2 dst_sel:DWORD dst_unused:UNUSED_PAD src0_sel:DWORD src1_sel:WORD_1
	v_fma_f16 v31, v44, v2, -v31
	v_mul_f16_sdwa v44, v44, v2 dst_sel:DWORD dst_unused:UNUSED_PAD src0_sel:DWORD src1_sel:WORD_1
	v_fma_f16 v44, v50, v2, v44
	v_mul_f16_sdwa v50, v51, v3 dst_sel:DWORD dst_unused:UNUSED_PAD src0_sel:DWORD src1_sel:WORD_1
	v_fma_f16 v50, v47, v3, -v50
	v_mul_f16_sdwa v47, v47, v3 dst_sel:DWORD dst_unused:UNUSED_PAD src0_sel:DWORD src1_sel:WORD_1
	v_fma_f16 v47, v51, v3, v47
	s_waitcnt vmcnt(0)
	v_mul_f16_sdwa v51, v48, v34 dst_sel:DWORD dst_unused:UNUSED_PAD src0_sel:DWORD src1_sel:WORD_1
	v_fma_f16 v51, v45, v34, -v51
	v_mul_f16_sdwa v45, v45, v34 dst_sel:DWORD dst_unused:UNUSED_PAD src0_sel:DWORD src1_sel:WORD_1
	v_mul_f16_sdwa v106, v86, v36 dst_sel:DWORD dst_unused:UNUSED_PAD src0_sel:DWORD src1_sel:WORD_1
	v_mul_f16_sdwa v107, v22, v36 dst_sel:DWORD dst_unused:UNUSED_PAD src0_sel:DWORD src1_sel:WORD_1
	v_mul_f16_sdwa v108, v87, v37 dst_sel:DWORD dst_unused:UNUSED_PAD src0_sel:DWORD src1_sel:WORD_1
	v_mul_f16_sdwa v109, v24, v37 dst_sel:DWORD dst_unused:UNUSED_PAD src0_sel:DWORD src1_sel:WORD_1
	v_fma_f16 v45, v48, v34, v45
	v_mul_f16_sdwa v48, v49, v35 dst_sel:DWORD dst_unused:UNUSED_PAD src0_sel:DWORD src1_sel:WORD_1
	v_mul_f16_sdwa v102, v54, v6 dst_sel:DWORD dst_unused:UNUSED_PAD src0_sel:DWORD src1_sel:WORD_1
	;; [unrolled: 1-line block ×5, first 2 shown]
	v_fma_f16 v53, v53, v5, v101
	v_fma_f16 v22, v22, v36, -v106
	v_fma_f16 v86, v86, v36, v107
	v_fma_f16 v24, v24, v37, -v108
	;; [unrolled: 2-line block ×3, first 2 shown]
	v_mul_f16_sdwa v46, v46, v35 dst_sel:DWORD dst_unused:UNUSED_PAD src0_sel:DWORD src1_sel:WORD_1
	v_fma_f16 v18, v18, v6, -v102
	v_fma_f16 v54, v54, v6, v103
	v_fma_f16 v20, v20, v7, -v104
	v_fma_f16 v55, v55, v7, v105
	v_fma_f16 v42, v42, v0, v99
	;; [unrolled: 1-line block ×3, first 2 shown]
	v_add_f16_e32 v49, v14, v24
	v_add_f16_e32 v99, v52, v87
	v_sub_f16_e32 v14, v14, v24
	v_sub_f16_e32 v24, v52, v87
	v_add_f16_e32 v52, v16, v22
	v_add_f16_e32 v87, v53, v86
	v_mul_f16_sdwa v101, v89, v9 dst_sel:DWORD dst_unused:UNUSED_PAD src0_sel:DWORD src1_sel:WORD_1
	v_mul_f16_sdwa v102, v17, v9 dst_sel:DWORD dst_unused:UNUSED_PAD src0_sel:DWORD src1_sel:WORD_1
	;; [unrolled: 1-line block ×5, first 2 shown]
	v_sub_f16_e32 v16, v16, v22
	v_sub_f16_e32 v22, v53, v86
	v_add_f16_e32 v53, v18, v20
	v_add_f16_e32 v86, v54, v55
	v_sub_f16_e32 v18, v20, v18
	v_sub_f16_e32 v20, v55, v54
	v_add_f16_e32 v54, v52, v49
	v_add_f16_e32 v55, v87, v99
	v_mul_f16_sdwa v106, v21, v11 dst_sel:DWORD dst_unused:UNUSED_PAD src0_sel:DWORD src1_sel:WORD_1
	v_fma_f16 v88, v88, v8, v100
	v_fma_f16 v17, v17, v9, -v101
	v_fma_f16 v89, v89, v9, v102
	v_fma_f16 v19, v19, v10, -v103
	;; [unrolled: 2-line block ×3, first 2 shown]
	v_sub_f16_e32 v100, v52, v49
	v_sub_f16_e32 v101, v87, v99
	;; [unrolled: 1-line block ×6, first 2 shown]
	v_add_f16_e32 v102, v18, v16
	v_add_f16_e32 v103, v20, v22
	v_sub_f16_e32 v104, v18, v16
	v_sub_f16_e32 v105, v20, v22
	;; [unrolled: 1-line block ×4, first 2 shown]
	v_add_f16_e32 v53, v53, v54
	v_add_f16_e32 v54, v86, v55
	v_fma_f16 v91, v91, v11, v106
	v_sub_f16_e32 v18, v14, v18
	v_sub_f16_e32 v20, v24, v20
	v_add_f16_e32 v14, v102, v14
	v_add_f16_e32 v24, v103, v24
	;; [unrolled: 1-line block ×3, first 2 shown]
	v_add_f16_sdwa v102, v12, v54 dst_sel:DWORD dst_unused:UNUSED_PAD src0_sel:WORD_1 src1_sel:DWORD
	v_mul_f16_e32 v12, 0x3a52, v49
	v_mul_f16_e32 v49, 0x3a52, v99
	;; [unrolled: 1-line block ×8, first 2 shown]
	v_mul_f16_sdwa v107, v94, v38 dst_sel:DWORD dst_unused:UNUSED_PAD src0_sel:DWORD src1_sel:WORD_1
	v_mul_f16_sdwa v108, v23, v38 dst_sel:DWORD dst_unused:UNUSED_PAD src0_sel:DWORD src1_sel:WORD_1
	v_mul_f16_sdwa v109, v95, v39 dst_sel:DWORD dst_unused:UNUSED_PAD src0_sel:DWORD src1_sel:WORD_1
	v_mul_f16_sdwa v110, v25, v39 dst_sel:DWORD dst_unused:UNUSED_PAD src0_sel:DWORD src1_sel:WORD_1
	v_fma_f16 v53, v53, s6, v55
	v_fma_f16 v54, v54, s6, v102
	;; [unrolled: 1-line block ×4, first 2 shown]
	v_fma_f16 v86, v100, s7, -v86
	v_fma_f16 v99, v101, s7, -v99
	v_fma_f16 v12, v100, s16, -v12
	v_fma_f16 v49, v101, s16, -v49
	v_fma_f16 v100, v18, s17, v103
	v_fma_f16 v101, v20, s17, v104
	v_fma_f16 v16, v16, s3, -v103
	v_fma_f16 v18, v18, s18, -v105
	;; [unrolled: 1-line block ×4, first 2 shown]
	v_fma_f16 v94, v94, v38, v108
	v_fma_f16 v25, v25, v39, -v109
	v_fma_f16 v95, v95, v39, v110
	v_fma_f16 v22, v22, s3, -v104
	v_add_f16_e32 v52, v52, v53
	v_add_f16_e32 v86, v86, v53
	;; [unrolled: 1-line block ×4, first 2 shown]
	v_fma_f16 v53, v14, s19, v100
	v_fma_f16 v16, v14, s19, v16
	;; [unrolled: 1-line block ×4, first 2 shown]
	v_add_f16_e32 v87, v87, v54
	v_add_f16_e32 v99, v99, v54
	v_fma_f16 v54, v24, s19, v101
	v_fma_f16 v22, v24, s19, v22
	v_add_f16_e32 v100, v18, v12
	v_sub_f16_e32 v101, v49, v14
	v_sub_f16_e32 v105, v12, v18
	v_add_f16_e32 v49, v14, v49
	v_add_f16_e32 v12, v15, v25
	;; [unrolled: 1-line block ×3, first 2 shown]
	v_sub_f16_e32 v15, v15, v25
	v_add_f16_e32 v18, v17, v23
	v_add_f16_e32 v25, v89, v94
	;; [unrolled: 1-line block ×3, first 2 shown]
	v_sub_f16_e32 v24, v87, v53
	v_sub_f16_e32 v103, v86, v22
	v_add_f16_e32 v104, v16, v99
	v_add_f16_e32 v22, v22, v86
	v_sub_f16_e32 v99, v99, v16
	v_sub_f16_e32 v52, v52, v54
	v_add_f16_e32 v53, v53, v87
	v_sub_f16_e32 v16, v88, v95
	v_sub_f16_e32 v17, v17, v23
	;; [unrolled: 1-line block ×3, first 2 shown]
	v_add_f16_e32 v54, v19, v21
	v_add_f16_e32 v86, v90, v91
	v_sub_f16_e32 v19, v21, v19
	v_sub_f16_e32 v21, v91, v90
	v_add_f16_e32 v87, v18, v12
	v_add_f16_e32 v88, v25, v14
	v_sub_f16_e32 v89, v18, v12
	v_sub_f16_e32 v90, v25, v14
	;; [unrolled: 1-line block ×6, first 2 shown]
	v_add_f16_e32 v91, v19, v17
	v_add_f16_e32 v94, v21, v23
	v_sub_f16_e32 v95, v19, v17
	v_sub_f16_e32 v106, v21, v23
	;; [unrolled: 1-line block ×3, first 2 shown]
	v_add_f16_e32 v54, v54, v87
	v_add_f16_e32 v86, v86, v88
	v_sub_f16_e32 v19, v15, v19
	v_sub_f16_e32 v21, v16, v21
	;; [unrolled: 1-line block ×3, first 2 shown]
	v_add_f16_e32 v15, v91, v15
	v_add_f16_e32 v107, v13, v54
	v_add_f16_sdwa v108, v13, v86 dst_sel:DWORD dst_unused:UNUSED_PAD src0_sel:WORD_1 src1_sel:DWORD
	v_mul_f16_e32 v12, 0x3a52, v12
	v_mul_f16_e32 v13, 0x3a52, v14
	;; [unrolled: 1-line block ×6, first 2 shown]
	v_add_f16_e32 v16, v94, v16
	v_mul_f16_e32 v14, 0x2b26, v18
	v_mul_f16_e32 v94, 0x3b00, v17
	v_fma_f16 v54, v54, s6, v107
	v_fma_f16 v86, v86, s6, v108
	;; [unrolled: 1-line block ×4, first 2 shown]
	v_fma_f16 v87, v90, s7, -v87
	v_fma_f16 v12, v89, s16, -v12
	;; [unrolled: 1-line block ×3, first 2 shown]
	v_fma_f16 v90, v21, s17, v91
	v_fma_f16 v17, v17, s3, -v88
	v_fma_f16 v23, v23, s3, -v91
	;; [unrolled: 1-line block ×4, first 2 shown]
	v_fma_f16 v89, v19, s17, v88
	v_fma_f16 v19, v19, s18, -v94
	v_add_f16_e32 v25, v25, v86
	v_add_f16_e32 v87, v87, v86
	;; [unrolled: 1-line block ×4, first 2 shown]
	v_fma_f16 v86, v16, s19, v90
	v_fma_f16 v17, v15, s19, v17
	;; [unrolled: 1-line block ×4, first 2 shown]
	v_add_f16_e32 v18, v18, v54
	v_add_f16_e32 v14, v14, v54
	v_fma_f16 v54, v15, s19, v89
	v_fma_f16 v15, v15, s19, v19
	v_add_f16_e32 v109, v16, v12
	v_add_f16_e32 v112, v17, v87
	v_sub_f16_e32 v114, v87, v17
	v_sub_f16_e32 v115, v12, v16
	v_add_f16_e32 v12, v43, v48
	v_add_f16_e32 v17, v98, v51
	;; [unrolled: 1-line block ×3, first 2 shown]
	v_sub_f16_e32 v110, v13, v15
	v_sub_f16_e32 v111, v14, v23
	v_add_f16_e32 v113, v23, v14
	v_add_f16_e32 v15, v15, v13
	v_sub_f16_e32 v116, v18, v86
	v_add_f16_e32 v13, v42, v46
	v_sub_f16_e32 v14, v43, v48
	v_sub_f16_e32 v16, v42, v46
	v_add_f16_e32 v18, v26, v45
	v_sub_f16_e32 v19, v98, v51
	v_sub_f16_e32 v23, v26, v45
	v_add_f16_e32 v26, v31, v50
	v_add_f16_e32 v42, v44, v47
	v_sub_f16_e32 v31, v50, v31
	v_sub_f16_e32 v43, v47, v44
	v_add_f16_e32 v44, v17, v12
	v_sub_f16_e32 v106, v25, v54
	v_add_f16_e32 v25, v54, v25
	v_add_f16_e32 v45, v18, v13
	v_sub_f16_e32 v46, v17, v12
	v_sub_f16_e32 v47, v18, v13
	;; [unrolled: 1-line block ×5, first 2 shown]
	v_add_f16_e32 v12, v31, v19
	v_add_f16_e32 v13, v43, v23
	v_sub_f16_e32 v54, v43, v23
	v_sub_f16_e32 v23, v23, v16
	v_add_f16_e32 v26, v26, v44
	v_sub_f16_e32 v18, v42, v18
	v_sub_f16_e32 v51, v31, v19
	;; [unrolled: 1-line block ×5, first 2 shown]
	v_add_f16_e32 v42, v42, v45
	v_add_f16_e32 v44, v12, v14
	;; [unrolled: 1-line block ×4, first 2 shown]
	v_mul_f16_e32 v14, 0x3a52, v48
	v_mul_f16_e32 v16, 0x3a52, v50
	;; [unrolled: 1-line block ×6, first 2 shown]
	v_fma_f16 v26, v26, s6, v12
	v_fma_f16 v17, v17, s2, v14
	v_fma_f16 v40, v46, s7, -v40
	v_fma_f16 v46, v46, s16, -v14
	v_fma_f16 v87, v43, s17, v50
	v_fma_f16 v43, v43, s18, -v54
	v_add_f16_e32 v13, v41, v42
	v_mul_f16_e32 v41, 0x2b26, v18
	v_fma_f16 v18, v18, s2, v16
	v_fma_f16 v86, v31, s17, v48
	v_add_f16_e32 v14, v17, v26
	v_add_f16_e32 v40, v40, v26
	;; [unrolled: 1-line block ×3, first 2 shown]
	v_fma_f16 v43, v45, s19, v43
	s_movk_i32 s2, 0x43
	v_mul_f16_e32 v51, 0x3b00, v19
	v_fma_f16 v19, v19, s3, -v48
	v_fma_f16 v23, v23, s3, -v50
	v_fma_f16 v17, v44, s19, v86
	v_add_f16_e32 v95, v43, v26
	v_sub_f16_e32 v86, v26, v43
	v_mov_b32_e32 v26, 0x1dc
	v_cmp_lt_u16_e64 s[2:3], s2, v28
	v_pack_b32_f16 v20, v20, v24
	v_pack_b32_f16 v24, v103, v104
	v_cndmask_b32_e64 v26, 0, v26, s[2:3]
	v_add_lshl_u32 v92, v92, v26, 2
	v_pack_b32_f16 v26, v55, v102
	ds_write2_b32 v92, v26, v20 offset1:68
	v_pack_b32_f16 v20, v100, v101
	ds_write2_b32 v92, v20, v24 offset0:136 offset1:204
	v_pack_b32_f16 v20, v22, v99
	v_pack_b32_f16 v22, v105, v49
	v_add_u32_e32 v24, 0x400, v92
	ds_write2_b32 v24, v20, v22 offset0:16 offset1:84
	v_pack_b32_f16 v20, v52, v53
	ds_write_b32 v92, v20 offset:1632
	v_mul_u32_u24_e32 v20, 0x1dc, v93
	v_add_lshl_u32 v93, v20, v97, 2
	v_pack_b32_f16 v20, v107, v108
	v_pack_b32_f16 v21, v21, v106
	v_fma_f16 v42, v42, s6, v13
	v_fma_f16 v41, v47, s7, -v41
	v_fma_f16 v47, v47, s16, -v16
	;; [unrolled: 1-line block ×3, first 2 shown]
	ds_write2_b32 v93, v20, v21 offset1:68
	v_pack_b32_f16 v20, v109, v110
	v_pack_b32_f16 v21, v111, v112
	v_add_f16_e32 v16, v18, v42
	v_add_f16_e32 v41, v41, v42
	;; [unrolled: 1-line block ×3, first 2 shown]
	v_fma_f16 v18, v45, s19, v87
	v_fma_f16 v46, v44, s19, v19
	;; [unrolled: 1-line block ×4, first 2 shown]
	ds_write2_b32 v93, v20, v21 offset0:136 offset1:204
	v_pack_b32_f16 v20, v113, v114
	v_pack_b32_f16 v15, v115, v15
	v_add_u32_e32 v21, 0x400, v93
	v_sub_f16_e32 v94, v42, v31
	v_sub_f16_e32 v19, v40, v23
	v_add_f16_e32 v88, v46, v41
	v_add_f16_e32 v23, v23, v40
	v_sub_f16_e32 v89, v41, v46
	v_add_f16_e32 v87, v31, v42
	v_sub_f16_e32 v90, v14, v18
	v_add_f16_e32 v91, v17, v16
	ds_write2_b32 v21, v20, v15 offset0:16 offset1:84
	v_pack_b32_f16 v15, v116, v25
	ds_write_b32 v93, v15 offset:1632
	s_and_saveexec_b64 s[2:3], s[0:1]
	s_cbranch_execz .LBB0_11
; %bb.10:
	v_sub_f16_e32 v16, v16, v17
	v_add_f16_e32 v14, v18, v14
	s_mov_b32 s6, 0x5040100
	v_perm_b32 v12, v13, v12, s6
	v_pack_b32_f16 v13, v14, v16
	v_add_u32_e32 v14, 0x1400, v159
	ds_write2_b32 v14, v12, v13 offset0:148 offset1:216
	v_perm_b32 v12, v94, v95, s6
	v_perm_b32 v13, v88, v19, s6
	v_add_u32_e32 v14, 0x1800, v159
	ds_write2_b32 v14, v12, v13 offset0:28 offset1:96
	v_perm_b32 v12, v89, v23, s6
	v_perm_b32 v13, v87, v86, s6
	ds_write2_b32 v14, v12, v13 offset0:164 offset1:232
	v_perm_b32 v12, v91, v90, s6
	ds_write_b32 v159, v12 offset:7344
.LBB0_11:
	s_or_b64 exec, exec, s[2:3]
	v_mad_u64_u32 v[20:21], s[2:3], v28, 12, s[4:5]
	s_movk_i32 s16, 0x1000
	s_waitcnt lgkmcnt(0)
	s_barrier
	global_load_dwordx3 v[12:14], v[20:21], off offset:1836
	global_load_dwordx3 v[16:18], v[20:21], off offset:3264
	v_add_co_u32_e64 v40, s[2:3], s16, v20
	v_add_u32_e32 v31, 0x600, v27
	s_nop 0
	v_addc_co_u32_e64 v41, s[2:3], 0, v21, s[2:3]
	global_load_dwordx3 v[20:22], v[40:41], off offset:596
	global_load_dwordx3 v[24:26], v[40:41], off offset:2024
	ds_read2_b32 v[44:45], v27 offset1:119
	v_add_u32_e32 v96, 0xe00, v27
	v_add_u32_e32 v113, 0x1600, v27
	v_add_u32_e32 v114, 0x200, v27
	v_add_u32_e32 v115, 0xa00, v27
	v_add_u32_e32 v116, 0x1200, v27
	v_add_u32_e32 v117, 0x1800, v27
	ds_read2_b32 v[40:41], v31 offset0:92 offset1:211
	ds_read2_b32 v[42:43], v96 offset0:56 offset1:175
	;; [unrolled: 1-line block ×7, first 2 shown]
	s_waitcnt lgkmcnt(6)
	v_lshrrev_b32_e32 v98, 16, v40
	v_lshrrev_b32_e32 v102, 16, v41
	s_waitcnt lgkmcnt(5)
	v_lshrrev_b32_e32 v103, 16, v43
	s_waitcnt lgkmcnt(2)
	v_lshrrev_b32_e32 v106, 16, v48
	v_lshrrev_b32_e32 v99, 16, v42
	s_waitcnt lgkmcnt(1)
	v_lshrrev_b32_e32 v111, 16, v51
	v_lshrrev_b32_e32 v100, 16, v46
	;; [unrolled: 1-line block ×3, first 2 shown]
	s_waitcnt lgkmcnt(0)
	v_lshrrev_b32_e32 v108, 16, v54
	v_lshrrev_b32_e32 v112, 16, v55
	;; [unrolled: 1-line block ×8, first 2 shown]
	s_waitcnt vmcnt(3)
	v_mul_f16_sdwa v118, v98, v12 dst_sel:DWORD dst_unused:UNUSED_PAD src0_sel:DWORD src1_sel:WORD_1
	s_waitcnt vmcnt(2)
	v_mul_f16_sdwa v124, v102, v16 dst_sel:DWORD dst_unused:UNUSED_PAD src0_sel:DWORD src1_sel:WORD_1
	v_mul_f16_sdwa v119, v40, v12 dst_sel:DWORD dst_unused:UNUSED_PAD src0_sel:DWORD src1_sel:WORD_1
	;; [unrolled: 1-line block ×5, first 2 shown]
	v_fma_f16 v40, v40, v12, -v118
	v_fma_f16 v118, v41, v16, -v124
	s_waitcnt vmcnt(1)
	v_mul_f16_sdwa v41, v106, v20 dst_sel:DWORD dst_unused:UNUSED_PAD src0_sel:DWORD src1_sel:WORD_1
	v_mul_f16_sdwa v120, v99, v13 dst_sel:DWORD dst_unused:UNUSED_PAD src0_sel:DWORD src1_sel:WORD_1
	;; [unrolled: 1-line block ×3, first 2 shown]
	v_fma_f16 v98, v98, v12, v119
	v_fma_f16 v99, v99, v13, v121
	v_fma_f16 v119, v43, v17, -v126
	v_mul_f16_sdwa v43, v48, v20 dst_sel:DWORD dst_unused:UNUSED_PAD src0_sel:DWORD src1_sel:WORD_1
	v_mul_f16_sdwa v121, v50, v21 dst_sel:DWORD dst_unused:UNUSED_PAD src0_sel:DWORD src1_sel:WORD_1
	v_fma_f16 v48, v48, v20, -v41
	s_waitcnt vmcnt(0)
	v_mul_f16_sdwa v41, v111, v25 dst_sel:DWORD dst_unused:UNUSED_PAD src0_sel:DWORD src1_sel:WORD_1
	v_mul_f16_sdwa v122, v100, v14 dst_sel:DWORD dst_unused:UNUSED_PAD src0_sel:DWORD src1_sel:WORD_1
	v_fma_f16 v42, v42, v13, -v120
	v_mul_f16_sdwa v120, v107, v21 dst_sel:DWORD dst_unused:UNUSED_PAD src0_sel:DWORD src1_sel:WORD_1
	v_fma_f16 v107, v107, v21, v121
	v_fma_f16 v121, v51, v25, -v41
	v_mul_f16_sdwa v41, v51, v25 dst_sel:DWORD dst_unused:UNUSED_PAD src0_sel:DWORD src1_sel:WORD_1
	v_mul_f16_sdwa v123, v46, v14 dst_sel:DWORD dst_unused:UNUSED_PAD src0_sel:DWORD src1_sel:WORD_1
	v_fma_f16 v46, v46, v14, -v122
	v_mul_f16_sdwa v122, v108, v22 dst_sel:DWORD dst_unused:UNUSED_PAD src0_sel:DWORD src1_sel:WORD_1
	v_fma_f16 v111, v111, v25, v41
	v_mul_f16_sdwa v41, v112, v26 dst_sel:DWORD dst_unused:UNUSED_PAD src0_sel:DWORD src1_sel:WORD_1
	v_fma_f16 v100, v100, v14, v123
	v_mul_f16_sdwa v123, v54, v22 dst_sel:DWORD dst_unused:UNUSED_PAD src0_sel:DWORD src1_sel:WORD_1
	v_fma_f16 v54, v54, v22, -v122
	v_fma_f16 v122, v55, v26, -v41
	v_mul_f16_sdwa v41, v55, v26 dst_sel:DWORD dst_unused:UNUSED_PAD src0_sel:DWORD src1_sel:WORD_1
	v_mul_f16_sdwa v124, v110, v24 dst_sel:DWORD dst_unused:UNUSED_PAD src0_sel:DWORD src1_sel:WORD_1
	v_fma_f16 v55, v112, v26, v41
	v_sub_f16_e32 v41, v44, v42
	v_sub_f16_e32 v46, v40, v46
	v_mul_f16_sdwa v128, v104, v18 dst_sel:DWORD dst_unused:UNUSED_PAD src0_sel:DWORD src1_sel:WORD_1
	v_mul_f16_sdwa v129, v47, v18 dst_sel:DWORD dst_unused:UNUSED_PAD src0_sel:DWORD src1_sel:WORD_1
	v_fma_f16 v102, v102, v16, v125
	v_mul_f16_sdwa v125, v49, v24 dst_sel:DWORD dst_unused:UNUSED_PAD src0_sel:DWORD src1_sel:WORD_1
	v_fma_f16 v106, v106, v20, v43
	v_fma_f16 v50, v50, v21, -v120
	v_fma_f16 v120, v49, v24, -v124
	v_sub_f16_e32 v49, v97, v99
	v_fma_f16 v43, v44, 2.0, -v41
	v_sub_f16_e32 v51, v98, v100
	v_fma_f16 v40, v40, 2.0, -v46
	v_fma_f16 v103, v103, v17, v127
	v_fma_f16 v47, v47, v18, -v128
	v_fma_f16 v104, v104, v18, v129
	v_fma_f16 v44, v97, 2.0, -v49
	v_fma_f16 v97, v98, 2.0, -v51
	v_sub_f16_e32 v42, v43, v40
	v_add_f16_e32 v99, v49, v46
	v_sub_f16_e32 v97, v44, v97
	v_fma_f16 v40, v43, 2.0, -v42
	v_sub_f16_e32 v43, v41, v51
	v_fma_f16 v100, v49, 2.0, -v99
	v_sub_f16_e32 v49, v45, v119
	v_sub_f16_e32 v51, v101, v103
	;; [unrolled: 1-line block ×4, first 2 shown]
	v_fma_f16 v98, v44, 2.0, -v97
	v_fma_f16 v44, v45, 2.0, -v49
	;; [unrolled: 1-line block ×4, first 2 shown]
	v_fma_f16 v108, v108, v22, v123
	v_sub_f16_e32 v103, v45, v101
	v_sub_f16_e32 v47, v49, v47
	v_fma_f16 v101, v45, 2.0, -v103
	v_add_f16_e32 v104, v51, v112
	v_fma_f16 v45, v49, 2.0, -v47
	v_sub_f16_e32 v49, v52, v50
	v_sub_f16_e32 v107, v105, v107
	;; [unrolled: 1-line block ×3, first 2 shown]
	v_fma_f16 v110, v110, v24, v125
	v_fma_f16 v102, v51, 2.0, -v104
	v_fma_f16 v51, v52, 2.0, -v49
	;; [unrolled: 1-line block ×3, first 2 shown]
	v_sub_f16_e32 v54, v48, v54
	v_fma_f16 v105, v106, 2.0, -v108
	v_fma_f16 v46, v118, 2.0, -v112
	;; [unrolled: 1-line block ×3, first 2 shown]
	v_sub_f16_e32 v105, v52, v105
	v_sub_f16_e32 v112, v53, v121
	;; [unrolled: 1-line block ×6, first 2 shown]
	v_fma_f16 v106, v52, 2.0, -v105
	v_fma_f16 v52, v53, 2.0, -v112
	;; [unrolled: 1-line block ×3, first 2 shown]
	v_sub_f16_e32 v111, v120, v122
	v_fma_f16 v109, v110, 2.0, -v55
	v_fma_f16 v44, v44, 2.0, -v46
	;; [unrolled: 1-line block ×3, first 2 shown]
	v_sub_f16_e32 v51, v49, v108
	v_add_f16_e32 v108, v107, v54
	v_fma_f16 v54, v120, 2.0, -v111
	v_sub_f16_e32 v109, v53, v109
	v_sub_f16_e32 v55, v112, v55
	v_add_f16_e32 v111, v118, v111
	v_fma_f16 v41, v41, 2.0, -v43
	v_fma_f16 v110, v53, 2.0, -v109
	;; [unrolled: 1-line block ×4, first 2 shown]
	v_pack_b32_f16 v118, v40, v98
	v_pack_b32_f16 v122, v44, v101
	;; [unrolled: 1-line block ×3, first 2 shown]
	ds_write2_b32 v27, v118, v122 offset1:119
	v_pack_b32_f16 v118, v45, v102
	v_sub_f16_e32 v54, v52, v54
	v_pack_b32_f16 v120, v42, v97
	ds_write2_b32 v31, v119, v118 offset0:92 offset1:211
	v_pack_b32_f16 v31, v46, v103
	v_fma_f16 v52, v52, 2.0, -v54
	v_pack_b32_f16 v121, v43, v99
	ds_write2_b32 v96, v120, v31 offset0:56 offset1:175
	v_pack_b32_f16 v31, v47, v104
	v_fma_f16 v49, v49, 2.0, -v51
	v_fma_f16 v107, v107, 2.0, -v108
	ds_write2_b32 v113, v121, v31 offset0:20 offset1:139
	v_pack_b32_f16 v31, v48, v106
	v_pack_b32_f16 v119, v52, v110
	;; [unrolled: 1-line block ×3, first 2 shown]
	ds_write2_b32 v114, v31, v119 offset0:110 offset1:229
	v_pack_b32_f16 v31, v53, v112
	v_pack_b32_f16 v113, v50, v105
	ds_write2_b32 v115, v96, v31 offset0:74 offset1:193
	v_pack_b32_f16 v31, v54, v109
	v_pack_b32_f16 v118, v51, v108
	ds_write2_b32 v116, v113, v31 offset0:38 offset1:157
	v_pack_b32_f16 v31, v55, v111
	ds_write2_b32 v117, v118, v31 offset0:130 offset1:249
	s_waitcnt lgkmcnt(0)
	s_barrier
	s_and_saveexec_b64 s[4:5], vcc
	s_cbranch_execz .LBB0_13
; %bb.12:
	s_add_u32 s6, s12, 0x1dc0
	s_addc_u32 s7, s13, 0
	global_load_dword v96, v30, s[6:7]
	global_load_dword v113, v30, s[6:7] offset:448
	global_load_dword v124, v30, s[6:7] offset:896
	;; [unrolled: 1-line block ×8, first 2 shown]
	v_mov_b32_e32 v31, 0
	global_load_dword v134, v30, s[6:7] offset:4032
	v_lshl_add_u64 v[114:115], s[6:7], 0, v[30:31]
	v_add_co_u32_e64 v114, s[2:3], s16, v114
	ds_read_b32 v116, v27
	s_nop 0
	v_addc_co_u32_e64 v115, s[2:3], 0, v115, s[2:3]
	global_load_dword v31, v[114:115], off offset:384
	v_or_b32_e32 v117, 0x1c00, v30
	global_load_dword v136, v[114:115], off offset:832
	global_load_dword v137, v[114:115], off offset:1280
	;; [unrolled: 1-line block ×5, first 2 shown]
	global_load_dword v141, v117, s[6:7]
	s_waitcnt lgkmcnt(0)
	v_lshrrev_b32_e32 v114, 16, v116
	v_add_u32_e32 v131, 0x400, v30
	v_add_u32_e32 v132, 0x800, v30
	v_add_u32_e32 v133, 0xc00, v30
	v_add_u32_e32 v135, 0xe00, v30
	s_waitcnt vmcnt(16)
	v_mul_f16_sdwa v115, v114, v96 dst_sel:DWORD dst_unused:UNUSED_PAD src0_sel:DWORD src1_sel:WORD_1
	v_mul_f16_sdwa v117, v116, v96 dst_sel:DWORD dst_unused:UNUSED_PAD src0_sel:DWORD src1_sel:WORD_1
	v_fma_f16 v115, v116, v96, -v115
	v_fma_f16 v96, v114, v96, v117
	v_pack_b32_f16 v96, v115, v96
	ds_write_b32 v27, v96
	ds_read2_b32 v[114:115], v30 offset0:112 offset1:224
	ds_read2_b32 v[116:117], v131 offset0:80 offset1:192
	;; [unrolled: 1-line block ×5, first 2 shown]
	s_waitcnt lgkmcnt(4)
	v_lshrrev_b32_e32 v96, 16, v114
	s_waitcnt vmcnt(15)
	v_mul_f16_sdwa v142, v114, v113 dst_sel:DWORD dst_unused:UNUSED_PAD src0_sel:DWORD src1_sel:WORD_1
	v_lshrrev_b32_e32 v143, 16, v115
	s_waitcnt vmcnt(14)
	v_mul_f16_sdwa v144, v115, v124 dst_sel:DWORD dst_unused:UNUSED_PAD src0_sel:DWORD src1_sel:WORD_1
	s_waitcnt lgkmcnt(3)
	v_lshrrev_b32_e32 v145, 16, v116
	s_waitcnt vmcnt(13)
	v_mul_f16_sdwa v146, v116, v125 dst_sel:DWORD dst_unused:UNUSED_PAD src0_sel:DWORD src1_sel:WORD_1
	v_lshrrev_b32_e32 v147, 16, v117
	s_waitcnt vmcnt(12)
	v_mul_f16_sdwa v148, v117, v126 dst_sel:DWORD dst_unused:UNUSED_PAD src0_sel:DWORD src1_sel:WORD_1
	;; [unrolled: 7-line block ×3, first 2 shown]
	s_waitcnt lgkmcnt(1)
	v_lshrrev_b32_e32 v153, 16, v120
	s_waitcnt vmcnt(9)
	v_mul_f16_sdwa v154, v120, v129 dst_sel:DWORD dst_unused:UNUSED_PAD src0_sel:DWORD src1_sel:WORD_1
	v_lshrrev_b32_e32 v155, 16, v121
	v_mul_f16_sdwa v158, v96, v113 dst_sel:DWORD dst_unused:UNUSED_PAD src0_sel:DWORD src1_sel:WORD_1
	v_fma_f16 v96, v96, v113, v142
	v_mul_f16_sdwa v142, v143, v124 dst_sel:DWORD dst_unused:UNUSED_PAD src0_sel:DWORD src1_sel:WORD_1
	s_waitcnt vmcnt(8)
	v_mul_f16_sdwa v156, v121, v130 dst_sel:DWORD dst_unused:UNUSED_PAD src0_sel:DWORD src1_sel:WORD_1
	v_fma_f16 v143, v143, v124, v144
	v_mul_f16_sdwa v144, v145, v125 dst_sel:DWORD dst_unused:UNUSED_PAD src0_sel:DWORD src1_sel:WORD_1
	v_fma_f16 v145, v145, v125, v146
	;; [unrolled: 2-line block ×6, first 2 shown]
	v_mul_f16_sdwa v154, v155, v130 dst_sel:DWORD dst_unused:UNUSED_PAD src0_sel:DWORD src1_sel:WORD_1
	v_fma_f16 v113, v114, v113, -v158
	v_fma_f16 v114, v115, v124, -v142
	s_waitcnt lgkmcnt(0)
	v_lshrrev_b32_e32 v157, 16, v122
	v_fma_f16 v155, v155, v130, v156
	v_fma_f16 v115, v116, v125, -v144
	v_fma_f16 v116, v117, v126, -v146
	;; [unrolled: 1-line block ×6, first 2 shown]
	v_pack_b32_f16 v96, v113, v96
	v_pack_b32_f16 v113, v114, v143
	;; [unrolled: 1-line block ×8, first 2 shown]
	ds_write2_b32 v30, v96, v113 offset0:112 offset1:224
	ds_write2_b32 v131, v114, v115 offset0:80 offset1:192
	;; [unrolled: 1-line block ×4, first 2 shown]
	s_waitcnt vmcnt(7)
	v_mul_f16_sdwa v96, v157, v134 dst_sel:DWORD dst_unused:UNUSED_PAD src0_sel:DWORD src1_sel:WORD_1
	v_mul_f16_sdwa v113, v122, v134 dst_sel:DWORD dst_unused:UNUSED_PAD src0_sel:DWORD src1_sel:WORD_1
	v_fma_f16 v96, v122, v134, -v96
	v_fma_f16 v113, v157, v134, v113
	v_pack_b32_f16 v96, v96, v113
	v_lshrrev_b32_e32 v113, 16, v123
	s_waitcnt vmcnt(6)
	v_mul_f16_sdwa v114, v113, v31 dst_sel:DWORD dst_unused:UNUSED_PAD src0_sel:DWORD src1_sel:WORD_1
	v_add_u32_e32 v118, 0x1200, v30
	v_fma_f16 v116, v123, v31, -v114
	ds_read2_b32 v[114:115], v118 offset0:80 offset1:192
	v_mul_f16_sdwa v117, v123, v31 dst_sel:DWORD dst_unused:UNUSED_PAD src0_sel:DWORD src1_sel:WORD_1
	v_fma_f16 v31, v113, v31, v117
	v_pack_b32_f16 v31, v116, v31
	ds_write2_b32 v135, v96, v31 offset0:112 offset1:224
	s_waitcnt lgkmcnt(1)
	v_lshrrev_b32_e32 v31, 16, v114
	s_waitcnt vmcnt(5)
	v_mul_f16_sdwa v96, v31, v136 dst_sel:DWORD dst_unused:UNUSED_PAD src0_sel:DWORD src1_sel:WORD_1
	v_mul_f16_sdwa v113, v114, v136 dst_sel:DWORD dst_unused:UNUSED_PAD src0_sel:DWORD src1_sel:WORD_1
	v_add_u32_e32 v119, 0x1600, v30
	v_fma_f16 v96, v114, v136, -v96
	v_fma_f16 v31, v31, v136, v113
	ds_read2_b32 v[116:117], v119 offset0:48 offset1:160
	v_pack_b32_f16 v31, v96, v31
	v_lshrrev_b32_e32 v96, 16, v115
	s_waitcnt vmcnt(4)
	v_mul_f16_sdwa v113, v96, v137 dst_sel:DWORD dst_unused:UNUSED_PAD src0_sel:DWORD src1_sel:WORD_1
	v_mul_f16_sdwa v114, v115, v137 dst_sel:DWORD dst_unused:UNUSED_PAD src0_sel:DWORD src1_sel:WORD_1
	v_fma_f16 v113, v115, v137, -v113
	v_fma_f16 v96, v96, v137, v114
	v_pack_b32_f16 v96, v113, v96
	ds_write2_b32 v118, v31, v96 offset0:80 offset1:192
	s_waitcnt lgkmcnt(1)
	v_lshrrev_b32_e32 v31, 16, v116
	s_waitcnt vmcnt(3)
	v_mul_f16_sdwa v96, v31, v138 dst_sel:DWORD dst_unused:UNUSED_PAD src0_sel:DWORD src1_sel:WORD_1
	v_mul_f16_sdwa v113, v116, v138 dst_sel:DWORD dst_unused:UNUSED_PAD src0_sel:DWORD src1_sel:WORD_1
	v_fma_f16 v96, v116, v138, -v96
	v_fma_f16 v31, v31, v138, v113
	v_add_u32_e32 v116, 0x1a00, v30
	v_pack_b32_f16 v31, v96, v31
	v_lshrrev_b32_e32 v96, 16, v117
	ds_read2_b32 v[114:115], v116 offset0:16 offset1:128
	s_waitcnt vmcnt(2)
	v_mul_f16_sdwa v113, v96, v139 dst_sel:DWORD dst_unused:UNUSED_PAD src0_sel:DWORD src1_sel:WORD_1
	v_fma_f16 v113, v117, v139, -v113
	v_mul_f16_sdwa v117, v117, v139 dst_sel:DWORD dst_unused:UNUSED_PAD src0_sel:DWORD src1_sel:WORD_1
	v_fma_f16 v96, v96, v139, v117
	v_pack_b32_f16 v96, v113, v96
	ds_write2_b32 v119, v31, v96 offset0:48 offset1:160
	s_waitcnt lgkmcnt(1)
	v_lshrrev_b32_e32 v31, 16, v114
	s_waitcnt vmcnt(1)
	v_mul_f16_sdwa v96, v31, v140 dst_sel:DWORD dst_unused:UNUSED_PAD src0_sel:DWORD src1_sel:WORD_1
	v_mul_f16_sdwa v113, v114, v140 dst_sel:DWORD dst_unused:UNUSED_PAD src0_sel:DWORD src1_sel:WORD_1
	v_fma_f16 v96, v114, v140, -v96
	v_fma_f16 v31, v31, v140, v113
	v_pack_b32_f16 v31, v96, v31
	v_lshrrev_b32_e32 v96, 16, v115
	s_waitcnt vmcnt(0)
	v_mul_f16_sdwa v113, v96, v141 dst_sel:DWORD dst_unused:UNUSED_PAD src0_sel:DWORD src1_sel:WORD_1
	v_mul_f16_sdwa v114, v115, v141 dst_sel:DWORD dst_unused:UNUSED_PAD src0_sel:DWORD src1_sel:WORD_1
	v_fma_f16 v113, v115, v141, -v113
	v_fma_f16 v96, v96, v141, v114
	v_pack_b32_f16 v96, v113, v96
	ds_write2_b32 v116, v31, v96 offset0:16 offset1:128
.LBB0_13:
	s_or_b64 exec, exec, s[4:5]
	s_waitcnt lgkmcnt(0)
	s_barrier
	s_and_saveexec_b64 s[2:3], vcc
	s_cbranch_execz .LBB0_15
; %bb.14:
	v_add_u32_e32 v31, 0x200, v27
	ds_read2_b32 v[42:43], v31 offset0:96 offset1:208
	v_add_u32_e32 v31, 0x600, v27
	ds_read2_b32 v[44:45], v31 offset0:64 offset1:176
	v_add_u32_e32 v31, 0xa00, v27
	ds_read2_b32 v[46:47], v31 offset0:32 offset1:144
	v_add_u32_e32 v31, 0xc00, v27
	ds_read2_b32 v[48:49], v31 offset0:128 offset1:240
	v_add_u32_e32 v31, 0x1000, v27
	ds_read2_b32 v[50:51], v31 offset0:96 offset1:208
	v_add_u32_e32 v31, 0x1400, v27
	ds_read2_b32 v[52:53], v31 offset0:64 offset1:176
	v_add_u32_e32 v31, 0x1800, v27
	ds_read2_b32 v[40:41], v27 offset1:112
	ds_read2_b32 v[54:55], v31 offset0:32 offset1:144
	ds_read_b32 v95, v27 offset:7168
	s_waitcnt lgkmcnt(8)
	v_lshrrev_b32_e32 v97, 16, v42
	v_lshrrev_b32_e32 v99, 16, v43
	s_waitcnt lgkmcnt(2)
	v_lshrrev_b32_e32 v98, 16, v40
	v_lshrrev_b32_e32 v100, 16, v41
	;; [unrolled: 1-line block ×12, first 2 shown]
	s_waitcnt lgkmcnt(1)
	v_lshrrev_b32_e32 v109, 16, v54
	v_lshrrev_b32_e32 v111, 16, v55
	s_waitcnt lgkmcnt(0)
	v_lshrrev_b32_e32 v94, 16, v95
.LBB0_15:
	s_or_b64 exec, exec, s[2:3]
	v_sub_f16_e32 v182, v100, v94
	v_add_f16_e32 v117, v95, v41
	v_add_f16_e32 v123, v94, v100
	s_movk_i32 s4, 0x3b76
	v_mul_f16_e32 v113, 0xb5c8, v182
	v_sub_f16_e32 v183, v97, v111
	v_sub_f16_e32 v185, v41, v95
	s_mov_b32 s2, 0xb5c8
	v_mul_f16_e32 v115, 0x3b76, v123
	v_fma_f16 v31, v117, s4, -v113
	v_add_f16_e32 v120, v55, v42
	v_add_f16_e32 v127, v111, v97
	s_movk_i32 s5, 0x39e9
	v_mul_f16_e32 v114, 0xb964, v183
	v_add_f16_e32 v31, v40, v31
	v_fma_f16 v96, v185, s2, v115
	v_sub_f16_e32 v187, v42, v55
	s_mov_b32 s2, 0xb964
	v_mul_f16_e32 v118, 0x39e9, v127
	v_fma_f16 v116, v120, s5, -v114
	v_add_f16_e32 v96, v98, v96
	v_add_f16_e32 v31, v116, v31
	v_fma_f16 v116, v187, s2, v118
	v_sub_f16_e32 v184, v99, v109
	v_add_f16_e32 v96, v116, v96
	v_add_f16_e32 v124, v54, v43
	;; [unrolled: 1-line block ×3, first 2 shown]
	s_movk_i32 s6, 0x3722
	v_mul_f16_e32 v116, 0xbb29, v184
	v_sub_f16_e32 v189, v43, v54
	s_mov_b32 s2, 0xbb29
	v_mul_f16_e32 v121, 0x3722, v131
	v_fma_f16 v119, v124, s6, -v116
	v_add_f16_e32 v31, v119, v31
	v_fma_f16 v119, v189, s2, v121
	v_sub_f16_e32 v186, v101, v112
	v_add_f16_e32 v96, v119, v96
	v_add_f16_e32 v128, v53, v44
	;; [unrolled: 1-line block ×3, first 2 shown]
	s_movk_i32 s7, 0x2de8
	v_mul_f16_e32 v119, 0xbbf7, v186
	v_sub_f16_e32 v191, v44, v53
	s_mov_b32 s2, 0xbbf7
	v_mul_f16_e32 v125, 0x2de8, v136
	v_fma_f16 v122, v128, s7, -v119
	v_add_f16_e32 v31, v122, v31
	v_fma_f16 v122, v191, s2, v125
	v_sub_f16_e32 v188, v102, v110
	v_add_f16_e32 v96, v122, v96
	v_add_f16_e32 v132, v52, v45
	v_add_f16_e32 v139, v110, v102
	s_mov_b32 s16, 0xb461
	v_mul_f16_e32 v122, 0xbbb2, v188
	v_sub_f16_e32 v193, v45, v52
	s_mov_b32 s2, 0xbbb2
	v_mul_f16_e32 v129, 0xb461, v139
	v_fma_f16 v126, v132, s16, -v122
	v_add_f16_e32 v31, v126, v31
	v_fma_f16 v126, v193, s2, v129
	v_sub_f16_e32 v190, v103, v108
	v_add_f16_e32 v96, v126, v96
	v_add_f16_e32 v137, v51, v46
	v_add_f16_e32 v143, v108, v103
	s_mov_b32 s17, 0xb8d2
	;; [unrolled: 12-line block ×3, first 2 shown]
	v_mul_f16_e32 v130, 0xb836, v192
	v_sub_f16_e32 v196, v47, v50
	s_mov_b32 s2, 0xb836
	v_mul_f16_e32 v138, 0xbacd, v153
	v_fma_f16 v134, v140, s18, -v130
	v_sub_f16_e32 v194, v106, v107
	v_add_f16_e32 v31, v134, v31
	v_fma_f16 v134, v196, s2, v138
	v_add_f16_e32 v144, v49, v48
	v_add_f16_e32 v154, v107, v106
	s_mov_b32 s19, 0xbbdd
	v_mul_f16_e32 v135, 0xb1e1, v194
	v_add_f16_e32 v96, v134, v96
	v_sub_f16_e32 v197, v48, v49
	s_mov_b32 s2, 0xb1e1
	v_mul_f16_e32 v141, 0xbbdd, v154
	v_fma_f16 v134, v144, s19, -v135
	v_add_f16_e32 v31, v134, v31
	v_fma_f16 v134, v197, s2, v141
	v_add_f16_e32 v96, v134, v96
	s_barrier
	s_and_saveexec_b64 s[2:3], vcc
	s_cbranch_execz .LBB0_17
; %bb.16:
	v_mul_f16_e32 v15, 0x3b76, v117
	v_accvgpr_write_b32 a18, v15
	v_mul_f16_e32 v15, 0xb5c8, v185
	v_accvgpr_write_b32 a27, v15
	;; [unrolled: 2-line block ×6, first 2 shown]
	v_mul_f16_e32 v15, 0xbb29, v189
	v_fma_f16 v134, v123, s5, v165
	v_accvgpr_write_b32 a6, v166
	v_mul_f16_e32 v166, 0xbbf7, v187
	v_accvgpr_write_b32 a29, v15
	v_mul_f16_e32 v15, 0x2de8, v128
	v_add_f16_e32 v134, v98, v134
	v_fma_f16 v142, v127, s7, v166
	v_accvgpr_write_b32 a7, v167
	v_mul_f16_e32 v167, 0xba62, v189
	v_accvgpr_write_b32 a21, v15
	v_mul_f16_e32 v15, 0xbbf7, v191
	v_add_f16_e32 v134, v142, v134
	;; [unrolled: 6-line block ×7, first 2 shown]
	v_fma_f16 v142, v154, s4, v173
	v_accvgpr_write_b32 a14, v174
	v_mul_f16_e32 v174, 0xb964, v182
	v_accvgpr_write_b32 a25, v15
	v_add_f16_e32 v15, v142, v134
	v_fma_f16 v142, v117, s5, -v174
	v_accvgpr_write_b32 a15, v175
	v_mul_f16_e32 v175, 0xbbf7, v183
	v_add_f16_e32 v142, v40, v142
	v_fma_f16 v155, v120, s7, -v175
	v_mul_f16_e32 v176, 0xba62, v184
	v_add_f16_e32 v142, v155, v142
	v_fma_f16 v155, v124, s17, -v176
	;; [unrolled: 3-line block ×7, first 2 shown]
	v_mul_f16_e32 v198, 0xbb29, v185
	v_accvgpr_write_b32 a16, v15
	v_add_f16_e32 v15, v155, v142
	v_fma_f16 v155, v123, s6, v198
	v_mul_f16_e32 v199, 0xba62, v187
	v_add_f16_e32 v155, v98, v155
	v_accvgpr_write_b32 a4, v164
	v_fma_f16 v164, v127, s17, v199
	v_mul_f16_e32 v200, 0x31e1, v189
	v_add_f16_e32 v155, v164, v155
	v_fma_f16 v164, v131, s19, v200
	v_mul_f16_e32 v201, 0x3bb2, v191
	v_add_f16_e32 v155, v164, v155
	;; [unrolled: 3-line block ×6, first 2 shown]
	v_fma_f16 v164, v154, s18, v205
	v_mul_f16_e32 v206, 0xbb29, v182
	v_accvgpr_write_b32 a17, v15
	v_add_f16_e32 v15, v164, v155
	v_fma_f16 v164, v117, s6, -v206
	v_mul_f16_e32 v207, 0xba62, v183
	v_add_f16_e32 v164, v40, v164
	v_accvgpr_write_b32 a9, v169
	v_fma_f16 v169, v120, s17, -v207
	v_mul_f16_e32 v208, 0x31e1, v184
	v_add_f16_e32 v164, v169, v164
	v_fma_f16 v169, v124, s19, -v208
	v_mul_f16_e32 v209, 0x3bb2, v186
	v_add_f16_e32 v164, v169, v164
	;; [unrolled: 3-line block ×7, first 2 shown]
	v_fma_f16 v169, v123, s7, v214
	v_mul_f16_e32 v215, 0xb1e1, v187
	v_add_f16_e32 v169, v98, v169
	v_fma_f16 v216, v127, s19, v215
	v_add_f16_e32 v169, v216, v169
	v_mul_f16_e32 v216, 0x3bb2, v189
	v_fma_f16 v217, v131, s16, v216
	v_add_f16_e32 v169, v217, v169
	v_mul_f16_e32 v217, 0x35c8, v191
	;; [unrolled: 3-line block ×7, first 2 shown]
	v_fma_f16 v223, v117, s7, -v222
	v_mul_f16_e32 v224, 0xb1e1, v183
	v_add_f16_e32 v223, v40, v223
	v_fma_f16 v225, v120, s19, -v224
	v_add_f16_e32 v223, v225, v223
	v_mul_f16_e32 v225, 0x3bb2, v184
	v_fma_f16 v226, v124, s16, -v225
	v_add_f16_e32 v223, v226, v223
	v_mul_f16_e32 v226, 0x35c8, v186
	;; [unrolled: 3-line block ×7, first 2 shown]
	v_fma_f16 v232, v123, s16, v231
	v_mul_f16_e32 v233, 0x3836, v187
	v_add_f16_e32 v232, v98, v232
	v_fma_f16 v234, v127, s18, v233
	v_add_f16_e32 v232, v234, v232
	v_mul_f16_e32 v234, 0x3964, v189
	v_fma_f16 v235, v131, s5, v234
	v_add_f16_e32 v232, v235, v232
	v_mul_f16_e32 v235, 0xbb29, v191
	;; [unrolled: 3-line block ×7, first 2 shown]
	v_fma_f16 v241, v117, s16, -v240
	v_mul_f16_e32 v242, 0x3836, v183
	v_add_f16_e32 v241, v40, v241
	v_fma_f16 v243, v120, s18, -v242
	v_add_f16_e32 v241, v243, v241
	v_mul_f16_e32 v243, 0x3964, v184
	v_fma_f16 v244, v124, s5, -v243
	v_add_f16_e32 v241, v244, v241
	v_mul_f16_e32 v244, 0xbb29, v186
	;; [unrolled: 3-line block ×7, first 2 shown]
	v_fma_f16 v250, v123, s17, v249
	v_mul_f16_e32 v251, 0x3bb2, v187
	v_add_f16_e32 v250, v98, v250
	v_fma_f16 v252, v127, s16, v251
	v_add_f16_e32 v250, v252, v250
	v_mul_f16_e32 v252, 0xb5c8, v189
	v_fma_f16 v253, v131, s4, v252
	v_add_f16_e32 v250, v253, v250
	v_mul_f16_e32 v253, 0xb836, v191
	;; [unrolled: 3-line block ×7, first 2 shown]
	v_fma_f16 v65, v117, s17, -v64
	v_mul_f16_e32 v66, 0x3bb2, v183
	v_add_f16_e32 v65, v40, v65
	v_fma_f16 v67, v120, s16, -v66
	v_add_f16_e32 v65, v67, v65
	v_mul_f16_e32 v67, 0xb5c8, v184
	v_fma_f16 v68, v124, s4, -v67
	v_add_f16_e32 v65, v68, v65
	v_mul_f16_e32 v68, 0xb836, v186
	;; [unrolled: 3-line block ×3, first 2 shown]
	v_fma_f16 v64, v117, s17, v64
	v_fma_f16 v78, v132, s7, -v69
	v_add_f16_e32 v64, v40, v64
	v_fma_f16 v66, v120, s16, v66
	v_add_f16_e32 v65, v78, v65
	v_mul_f16_e32 v78, 0xb964, v190
	v_add_f16_e32 v64, v66, v64
	v_fma_f16 v66, v124, s4, v67
	v_fma_f16 v79, v137, s5, -v78
	v_add_f16_e32 v64, v66, v64
	v_fma_f16 v66, v128, s18, v68
	v_add_f16_e32 v65, v79, v65
	v_mul_f16_e32 v79, 0xb1e1, v192
	v_add_f16_e32 v64, v66, v64
	;; [unrolled: 7-line block ×3, first 2 shown]
	v_fma_f16 v66, v140, s19, v79
	v_add_f16_e32 v64, v66, v64
	v_fma_f16 v66, v144, s6, v80
	v_add_f16_e32 v64, v66, v64
	v_fma_f16 v66, v123, s16, -v231
	v_add_f16_e32 v66, v98, v66
	v_fma_f16 v67, v127, s18, -v233
	;; [unrolled: 2-line block ×8, first 2 shown]
	v_add_f16_e32 v66, v67, v66
	v_fma_f16 v67, v117, s16, v240
	v_add_f16_e32 v67, v40, v67
	v_fma_f16 v68, v120, s18, v242
	v_fma_f16 v81, v144, s6, -v80
	v_add_f16_e32 v67, v68, v67
	v_fma_f16 v68, v124, s5, v243
	v_add_f16_e32 v65, v81, v65
	v_mul_f16_e32 v81, 0xb836, v185
	v_add_f16_e32 v67, v68, v67
	v_fma_f16 v68, v128, s6, v244
	v_fma_f16 v82, v123, s18, v81
	v_mul_f16_e32 v83, 0x3b29, v187
	v_add_f16_e32 v67, v68, v67
	v_fma_f16 v68, v132, s19, v245
	v_add_f16_e32 v82, v98, v82
	v_fma_f16 v84, v127, s6, v83
	v_add_f16_e32 v67, v68, v67
	v_fma_f16 v68, v137, s7, v246
	v_add_f16_e32 v82, v84, v82
	v_mul_f16_e32 v84, 0xbbf7, v189
	v_add_f16_e32 v67, v68, v67
	v_fma_f16 v68, v140, s4, v247
	v_fma_f16 v85, v131, s7, v84
	v_add_f16_e32 v67, v68, v67
	v_fma_f16 v68, v144, s17, v248
	v_add_f16_e32 v82, v85, v82
	v_mul_f16_e32 v85, 0x3a62, v191
	v_add_f16_e32 v67, v68, v67
	v_fma_f16 v68, v123, s7, -v214
	v_fma_f16 v134, v136, s17, v85
	v_add_f16_e32 v68, v98, v68
	v_fma_f16 v69, v127, s19, -v215
	v_add_f16_e32 v82, v134, v82
	v_mul_f16_e32 v134, 0xb5c8, v193
	v_add_f16_e32 v68, v69, v68
	v_fma_f16 v69, v131, s16, -v216
	v_fma_f16 v142, v139, s4, v134
	v_add_f16_e32 v68, v69, v68
	v_fma_f16 v69, v136, s4, -v217
	;; [unrolled: 7-line block ×4, first 2 shown]
	v_add_f16_e32 v82, v146, v82
	v_mul_f16_e32 v146, 0xbbb2, v197
	v_add_f16_e32 v68, v69, v68
	v_fma_f16 v69, v117, s7, v222
	v_fma_f16 v147, v154, s16, v146
	v_fma_f16 v81, v123, s18, -v81
	v_add_f16_e32 v69, v40, v69
	v_fma_f16 v78, v120, s19, v224
	v_add_f16_e32 v82, v147, v82
	v_mul_f16_e32 v147, 0xb836, v182
	v_add_f16_e32 v81, v98, v81
	v_fma_f16 v83, v127, s6, -v83
	v_add_f16_e32 v69, v78, v69
	v_fma_f16 v78, v124, s16, v225
	v_accvgpr_write_b32 a26, v15
	v_fma_f16 v148, v117, s18, -v147
	v_mul_f16_e32 v15, 0x3b29, v183
	v_add_f16_e32 v81, v83, v81
	v_fma_f16 v83, v131, s7, -v84
	v_add_f16_e32 v69, v78, v69
	v_fma_f16 v78, v128, s4, v226
	v_add_f16_e32 v148, v40, v148
	v_fma_f16 v150, v120, s6, -v15
	v_add_f16_e32 v81, v83, v81
	v_fma_f16 v83, v136, s17, -v85
	v_add_f16_e32 v69, v78, v69
	v_fma_f16 v78, v132, s6, v227
	v_add_f16_e32 v148, v150, v148
	v_mul_f16_e32 v150, 0xbbf7, v184
	v_add_f16_e32 v81, v83, v81
	v_fma_f16 v83, v139, s4, -v134
	v_add_f16_e32 v69, v78, v69
	v_fma_f16 v78, v137, s18, v228
	v_fma_f16 v151, v124, s7, -v150
	v_add_f16_e32 v81, v83, v81
	v_fma_f16 v83, v143, s19, -v142
	v_add_f16_e32 v69, v78, v69
	v_fma_f16 v78, v140, s17, v229
	v_add_f16_e32 v148, v151, v148
	v_mul_f16_e32 v151, 0x3a62, v186
	v_add_f16_e32 v81, v83, v81
	v_fma_f16 v83, v153, s5, -v145
	v_add_f16_e32 v69, v78, v69
	v_fma_f16 v78, v144, s5, v230
	v_fma_f16 v152, v128, s17, -v151
	v_add_f16_e32 v81, v83, v81
	v_fma_f16 v83, v154, s16, -v146
	v_add_f16_e32 v69, v78, v69
	v_fma_f16 v78, v123, s6, -v198
	v_add_f16_e32 v148, v152, v148
	v_mul_f16_e32 v152, 0xb5c8, v188
	v_add_f16_e32 v81, v83, v81
	v_fma_f16 v83, v117, s18, v147
	v_add_f16_e32 v78, v98, v78
	v_fma_f16 v79, v127, s17, -v199
	v_fma_f16 v155, v132, s4, -v152
	v_add_f16_e32 v83, v40, v83
	v_fma_f16 v15, v120, s6, v15
	v_add_f16_e32 v78, v79, v78
	v_fma_f16 v79, v131, s19, -v200
	v_add_f16_e32 v148, v155, v148
	v_mul_f16_e32 v155, 0xb1e1, v190
	v_add_f16_e32 v15, v15, v83
	v_fma_f16 v83, v124, s7, v150
	v_add_f16_e32 v78, v79, v78
	v_fma_f16 v79, v136, s16, -v201
	v_fma_f16 v149, v137, s19, -v155
	v_add_f16_e32 v15, v83, v15
	v_fma_f16 v83, v128, s17, v151
	v_add_f16_e32 v78, v79, v78
	v_fma_f16 v79, v139, s5, -v202
	v_add_f16_e32 v148, v149, v148
	;; [unrolled: 11-line block ×3, first 2 shown]
	v_mul_f16_e32 v156, 0xbbb2, v194
	v_add_f16_e32 v15, v83, v15
	v_fma_f16 v83, v140, s5, v149
	v_add_f16_e32 v78, v79, v78
	v_fma_f16 v79, v154, s18, -v205
	v_add_f16_e32 v15, v83, v15
	v_fma_f16 v83, v144, s16, v156
	v_add_f16_e32 v78, v79, v78
	v_fma_f16 v79, v117, s6, v206
	v_add_f16_e32 v15, v83, v15
	v_fma_f16 v83, v123, s17, -v249
	v_add_f16_e32 v79, v40, v79
	v_fma_f16 v80, v120, s17, v207
	v_add_f16_e32 v83, v98, v83
	v_fma_f16 v84, v127, s16, -v251
	;; [unrolled: 4-line block ×8, first 2 shown]
	v_add_f16_e32 v79, v80, v79
	v_fma_f16 v80, v123, s5, -v165
	v_add_f16_e32 v63, v63, v83
	v_add_f16_e32 v80, v98, v80
	v_fma_f16 v83, v127, s7, -v166
	v_add_f16_e32 v80, v83, v80
	v_fma_f16 v83, v131, s17, -v167
	;; [unrolled: 2-line block ×7, first 2 shown]
	v_add_f16_e32 v80, v83, v80
	v_fma_f16 v83, v117, s5, v174
	v_add_f16_e32 v83, v40, v83
	v_fma_f16 v84, v120, s7, v175
	;; [unrolled: 2-line block ×5, first 2 shown]
	v_fma_f16 v157, v144, s16, -v156
	v_add_f16_e32 v83, v84, v83
	v_fma_f16 v84, v137, s16, v179
	v_add_f16_e32 v148, v157, v148
	v_mul_f16_e32 v157, 0xb1e1, v185
	v_add_f16_e32 v83, v84, v83
	v_fma_f16 v84, v140, s6, v180
	v_fma_f16 v185, v123, s19, v157
	v_mul_f16_e32 v187, 0x35c8, v187
	v_add_f16_e32 v83, v84, v83
	v_fma_f16 v84, v144, s4, v181
	v_add_f16_e32 v185, v98, v185
	v_fma_f16 v158, v127, s4, v187
	v_add_f16_e32 v83, v84, v83
	v_accvgpr_read_b32 v84, a27
	v_add_f16_e32 v158, v158, v185
	v_mul_f16_e32 v185, 0xb836, v189
	v_sub_f16_e32 v84, v115, v84
	v_accvgpr_read_b32 v85, a28
	v_fma_f16 v189, v131, s18, v185
	v_add_f16_e32 v84, v98, v84
	v_sub_f16_e32 v85, v118, v85
	v_add_f16_e32 v158, v189, v158
	v_mul_f16_e32 v189, 0x3964, v191
	v_add_f16_e32 v84, v85, v84
	v_accvgpr_read_b32 v85, a29
	v_fma_f16 v191, v136, s5, v189
	v_sub_f16_e32 v85, v121, v85
	v_add_f16_e32 v158, v191, v158
	v_mul_f16_e32 v191, 0xba62, v193
	v_add_f16_e32 v84, v85, v84
	v_accvgpr_read_b32 v85, a30
	v_fma_f16 v193, v139, s17, v191
	v_sub_f16_e32 v85, v125, v85
	v_add_f16_e32 v158, v193, v158
	v_mul_f16_e32 v193, 0x3b29, v195
	v_add_f16_e32 v84, v85, v84
	v_accvgpr_read_b32 v85, a31
	v_accvgpr_write_b32 a1, v161
	v_mul_f16_e32 v161, 0xba62, v195
	v_fma_f16 v195, v143, s6, v193
	v_sub_f16_e32 v85, v129, v85
	v_accvgpr_write_b32 a2, v162
	v_mul_f16_e32 v162, 0xb836, v196
	v_add_f16_e32 v158, v195, v158
	v_mul_f16_e32 v195, 0xbbb2, v196
	v_add_f16_e32 v84, v85, v84
	v_sub_f16_e32 v85, v133, v161
	v_accvgpr_write_b32 a3, v163
	v_mul_f16_e32 v163, 0xb1e1, v197
	v_fma_f16 v196, v153, s16, v195
	v_add_f16_e32 v84, v85, v84
	v_sub_f16_e32 v85, v138, v162
	v_add_f16_e32 v158, v196, v158
	v_mul_f16_e32 v196, 0x3bf7, v197
	v_add_f16_e32 v84, v85, v84
	v_sub_f16_e32 v85, v141, v163
	v_fma_f16 v197, v154, s7, v196
	v_mul_f16_e32 v182, 0xb1e1, v182
	v_add_f16_e32 v84, v85, v84
	v_accvgpr_read_b32 v85, a18
	v_add_f16_e32 v158, v197, v158
	v_fma_f16 v197, v117, s19, -v182
	v_fma_f16 v182, v117, s19, v182
	v_add_f16_e32 v85, v85, v113
	v_add_f16_e32 v197, v40, v197
	v_add_f16_e32 v182, v40, v182
	v_add_f16_e32 v85, v40, v85
	v_add_f16_e32 v40, v41, v40
	v_add_f16_e32 v41, v100, v98
	v_accvgpr_read_b32 v113, a19
	v_add_f16_e32 v40, v42, v40
	v_add_f16_e32 v41, v97, v41
	v_add_f16_e32 v113, v113, v114
	v_add_f16_e32 v40, v43, v40
	v_add_f16_e32 v41, v99, v41
	v_add_f16_e32 v85, v113, v85
	v_accvgpr_read_b32 v113, a20
	;; [unrolled: 7-line block ×5, first 2 shown]
	v_add_f16_e32 v40, v50, v40
	v_add_f16_e32 v41, v105, v41
	;; [unrolled: 1-line block ×5, first 2 shown]
	v_mul_f16_e32 v183, 0x35c8, v183
	v_fma_f16 v157, v123, s19, -v157
	v_add_f16_e32 v85, v113, v85
	v_accvgpr_read_b32 v113, a24
	v_add_f16_e32 v40, v52, v40
	v_add_f16_e32 v41, v110, v41
	v_accvgpr_write_b32 a0, v160
	v_fma_f16 v160, v120, s4, -v183
	v_mul_f16_e32 v184, 0xb836, v184
	v_add_f16_e32 v157, v98, v157
	v_fma_f16 v187, v127, s4, -v187
	v_fma_f16 v183, v120, s4, v183
	v_add_f16_e32 v113, v113, v130
	v_add_f16_e32 v40, v53, v40
	v_add_f16_e32 v41, v112, v41
	v_add_f16_e32 v160, v160, v197
	v_fma_f16 v197, v124, s18, -v184
	v_mul_f16_e32 v186, 0x3964, v186
	v_add_f16_e32 v157, v187, v157
	v_fma_f16 v185, v131, s18, -v185
	v_add_f16_e32 v182, v183, v182
	v_fma_f16 v183, v124, s18, v184
	v_add_f16_e32 v85, v113, v85
	v_accvgpr_read_b32 v113, a25
	v_add_f16_e32 v40, v54, v40
	v_add_f16_e32 v41, v109, v41
	v_add_f16_e32 v160, v197, v160
	v_fma_f16 v197, v128, s5, -v186
	v_mul_f16_e32 v188, 0xba62, v188
	v_add_f16_e32 v157, v185, v157
	v_fma_f16 v185, v136, s5, -v189
	v_add_f16_e32 v182, v183, v182
	v_fma_f16 v183, v128, s5, v186
	v_add_f16_e32 v113, v113, v135
	v_add_f16_e32 v40, v55, v40
	;; [unrolled: 1-line block ×4, first 2 shown]
	v_fma_f16 v197, v132, s17, -v188
	v_mul_f16_e32 v190, 0x3b29, v190
	v_add_f16_e32 v157, v185, v157
	v_fma_f16 v185, v139, s17, -v191
	v_add_f16_e32 v182, v183, v182
	v_fma_f16 v183, v132, s17, v188
	v_add_f16_e32 v85, v113, v85
	v_add_f16_e32 v40, v95, v40
	;; [unrolled: 1-line block ×3, first 2 shown]
	v_mul_lo_u16_e32 v42, 17, v28
	v_add_f16_e32 v160, v197, v160
	v_fma_f16 v197, v137, s6, -v190
	v_mul_f16_e32 v192, 0xbbb2, v192
	v_add_f16_e32 v157, v185, v157
	v_fma_f16 v185, v143, s6, -v193
	v_add_f16_e32 v182, v183, v182
	v_fma_f16 v183, v137, s6, v190
	v_lshlrev_b32_e32 v42, 2, v42
	v_pack_b32_f16 v43, v85, v84
	v_pack_b32_f16 v40, v40, v41
	v_add_f16_e32 v160, v197, v160
	v_fma_f16 v197, v140, s16, -v192
	v_mul_f16_e32 v194, 0x3bf7, v194
	v_add_f16_e32 v157, v185, v157
	v_fma_f16 v185, v153, s16, -v195
	v_add_f16_e32 v182, v183, v182
	v_fma_f16 v183, v140, s16, v192
	ds_write2_b32 v42, v40, v43 offset1:1
	v_pack_b32_f16 v40, v79, v78
	v_pack_b32_f16 v41, v83, v80
	v_add_f16_e32 v160, v197, v160
	v_fma_f16 v197, v144, s7, -v194
	v_add_f16_e32 v157, v185, v157
	v_fma_f16 v185, v154, s7, -v196
	v_add_f16_e32 v182, v183, v182
	v_fma_f16 v183, v144, s7, v194
	ds_write2_b32 v42, v41, v40 offset0:2 offset1:3
	v_pack_b32_f16 v40, v67, v66
	v_pack_b32_f16 v41, v69, v68
	v_add_f16_e32 v160, v197, v160
	v_add_f16_e32 v157, v185, v157
	;; [unrolled: 1-line block ×3, first 2 shown]
	ds_write2_b32 v42, v41, v40 offset0:4 offset1:5
	v_pack_b32_f16 v15, v15, v81
	v_pack_b32_f16 v40, v64, v63
	ds_write2_b32 v42, v40, v15 offset0:6 offset1:7
	v_pack_b32_f16 v15, v160, v158
	v_pack_b32_f16 v40, v182, v157
	;; [unrolled: 3-line block ×4, first 2 shown]
	ds_write2_b32 v42, v40, v15 offset0:12 offset1:13
	v_accvgpr_read_b32 v15, a16
	v_accvgpr_read_b32 v40, a17
	v_pack_b32_f16 v15, v40, v15
	v_accvgpr_read_b32 v40, a26
	v_pack_b32_f16 v40, v164, v40
	s_mov_b32 s4, 0x5040100
	v_accvgpr_read_b32 v165, a5
	v_accvgpr_read_b32 v166, a6
	;; [unrolled: 1-line block ×16, first 2 shown]
	ds_write2_b32 v42, v40, v15 offset0:14 offset1:15
	v_perm_b32 v15, v96, v31, s4
	ds_write_b32 v42, v15 offset:64
.LBB0_17:
	s_or_b64 exec, exec, s[2:3]
	v_add_u32_e32 v15, 0xe00, v27
	s_waitcnt lgkmcnt(0)
	s_barrier
	ds_read2_b32 v[42:43], v15 offset0:56 offset1:175
	v_add_u32_e32 v66, 0x1200, v27
	ds_read2_b32 v[46:47], v66 offset0:38 offset1:157
	v_add_u32_e32 v82, 0x1600, v27
	ds_read2_b32 v[50:51], v82 offset0:20 offset1:139
	s_waitcnt lgkmcnt(2)
	v_lshrrev_b32_e32 v63, 16, v42
	v_mul_f16_sdwa v101, v29, v63 dst_sel:DWORD dst_unused:UNUSED_PAD src0_sel:WORD_1 src1_sel:DWORD
	v_lshrrev_b32_e32 v67, 16, v43
	v_fma_f16 v101, v29, v42, v101
	v_mul_f16_sdwa v42, v29, v42 dst_sel:DWORD dst_unused:UNUSED_PAD src0_sel:WORD_1 src1_sel:DWORD
	v_fma_f16 v29, v29, v63, -v42
	v_mul_f16_sdwa v42, v33, v67 dst_sel:DWORD dst_unused:UNUSED_PAD src0_sel:WORD_1 src1_sel:DWORD
	s_waitcnt lgkmcnt(1)
	v_lshrrev_b32_e32 v78, 16, v46
	v_fma_f16 v42, v33, v43, v42
	v_mul_f16_sdwa v43, v33, v43 dst_sel:DWORD dst_unused:UNUSED_PAD src0_sel:WORD_1 src1_sel:DWORD
	v_fma_f16 v33, v33, v67, -v43
	v_mul_f16_sdwa v43, v56, v78 dst_sel:DWORD dst_unused:UNUSED_PAD src0_sel:WORD_1 src1_sel:DWORD
	v_lshrrev_b32_e32 v80, 16, v47
	v_add_u32_e32 v84, 0x1800, v27
	v_fma_f16 v43, v56, v46, v43
	v_mul_f16_sdwa v46, v56, v46 dst_sel:DWORD dst_unused:UNUSED_PAD src0_sel:WORD_1 src1_sel:DWORD
	ds_read2_b32 v[54:55], v84 offset0:130 offset1:249
	v_fma_f16 v46, v56, v78, -v46
	v_mul_f16_sdwa v56, v57, v80 dst_sel:DWORD dst_unused:UNUSED_PAD src0_sel:WORD_1 src1_sel:DWORD
	s_waitcnt lgkmcnt(1)
	v_lshrrev_b32_e32 v85, 16, v50
	v_fma_f16 v56, v57, v47, v56
	v_mul_f16_sdwa v47, v57, v47 dst_sel:DWORD dst_unused:UNUSED_PAD src0_sel:WORD_1 src1_sel:DWORD
	v_fma_f16 v47, v57, v80, -v47
	v_mul_f16_sdwa v57, v58, v85 dst_sel:DWORD dst_unused:UNUSED_PAD src0_sel:WORD_1 src1_sel:DWORD
	v_lshrrev_b32_e32 v95, 16, v51
	v_fma_f16 v57, v58, v50, v57
	v_mul_f16_sdwa v50, v58, v50 dst_sel:DWORD dst_unused:UNUSED_PAD src0_sel:WORD_1 src1_sel:DWORD
	ds_read2_b32 v[40:41], v27 offset1:119
	v_fma_f16 v50, v58, v85, -v50
	v_mul_f16_sdwa v58, v59, v95 dst_sel:DWORD dst_unused:UNUSED_PAD src0_sel:WORD_1 src1_sel:DWORD
	v_add_u32_e32 v65, 0x200, v27
	s_waitcnt lgkmcnt(1)
	v_lshrrev_b32_e32 v98, 16, v54
	v_fma_f16 v58, v59, v51, v58
	v_mul_f16_sdwa v51, v59, v51 dst_sel:DWORD dst_unused:UNUSED_PAD src0_sel:WORD_1 src1_sel:DWORD
	ds_read2_b32 v[44:45], v65 offset0:110 offset1:229
	v_fma_f16 v51, v59, v95, -v51
	v_mul_f16_sdwa v59, v60, v98 dst_sel:DWORD dst_unused:UNUSED_PAD src0_sel:WORD_1 src1_sel:DWORD
	v_add_u32_e32 v68, 0x600, v27
	v_lshrrev_b32_e32 v100, 16, v55
	v_fma_f16 v59, v60, v54, v59
	v_mul_f16_sdwa v54, v60, v54 dst_sel:DWORD dst_unused:UNUSED_PAD src0_sel:WORD_1 src1_sel:DWORD
	ds_read2_b32 v[48:49], v68 offset0:92 offset1:211
	v_fma_f16 v54, v60, v98, -v54
	v_mul_f16_sdwa v60, v61, v100 dst_sel:DWORD dst_unused:UNUSED_PAD src0_sel:WORD_1 src1_sel:DWORD
	s_waitcnt lgkmcnt(2)
	v_lshrrev_b32_e32 v62, 16, v40
	v_add_u32_e32 v83, 0xa00, v27
	v_fma_f16 v60, v61, v55, v60
	v_mul_f16_sdwa v55, v61, v55 dst_sel:DWORD dst_unused:UNUSED_PAD src0_sel:WORD_1 src1_sel:DWORD
	v_lshrrev_b32_e32 v64, 16, v41
	ds_read2_b32 v[52:53], v83 offset0:74 offset1:193
	v_fma_f16 v55, v61, v100, -v55
	v_sub_f16_e32 v61, v40, v101
	v_sub_f16_e32 v29, v62, v29
	s_waitcnt lgkmcnt(2)
	v_lshrrev_b32_e32 v69, 16, v44
	v_fma_f16 v40, v40, 2.0, -v61
	v_fma_f16 v62, v62, 2.0, -v29
	v_sub_f16_e32 v42, v41, v42
	v_sub_f16_e32 v33, v64, v33
	v_lshrrev_b32_e32 v79, 16, v45
	v_fma_f16 v41, v41, 2.0, -v42
	v_fma_f16 v63, v64, 2.0, -v33
	v_sub_f16_e32 v43, v44, v43
	v_sub_f16_e32 v46, v69, v46
	v_pack_b32_f16 v40, v40, v62
	v_pack_b32_f16 v29, v61, v29
	s_waitcnt lgkmcnt(1)
	v_lshrrev_b32_e32 v81, 16, v48
	v_fma_f16 v44, v44, 2.0, -v43
	v_fma_f16 v64, v69, 2.0, -v46
	v_sub_f16_e32 v56, v45, v56
	v_sub_f16_e32 v47, v79, v47
	s_waitcnt lgkmcnt(0)
	s_barrier
	ds_write2_b32 v160, v40, v29 offset1:17
	v_pack_b32_f16 v29, v41, v63
	v_pack_b32_f16 v33, v42, v33
	v_lshrrev_b32_e32 v94, 16, v49
	v_fma_f16 v45, v45, 2.0, -v56
	v_fma_f16 v67, v79, 2.0, -v47
	v_sub_f16_e32 v57, v48, v57
	v_sub_f16_e32 v50, v81, v50
	ds_write2_b32 v161, v29, v33 offset1:17
	v_pack_b32_f16 v29, v44, v64
	v_pack_b32_f16 v33, v43, v46
	v_lshrrev_b32_e32 v97, 16, v52
	v_fma_f16 v48, v48, 2.0, -v57
	v_fma_f16 v69, v81, 2.0, -v50
	v_sub_f16_e32 v58, v49, v58
	v_sub_f16_e32 v51, v94, v51
	;; [unrolled: 8-line block ×3, first 2 shown]
	ds_write2_b32 v163, v29, v33 offset1:17
	v_pack_b32_f16 v29, v48, v69
	v_pack_b32_f16 v33, v57, v50
	v_fma_f16 v52, v52, 2.0, -v59
	v_fma_f16 v79, v97, 2.0, -v54
	v_sub_f16_e32 v60, v53, v60
	v_sub_f16_e32 v55, v99, v55
	ds_write2_b32 v164, v29, v33 offset1:17
	v_pack_b32_f16 v29, v49, v78
	v_pack_b32_f16 v33, v58, v51
	v_fma_f16 v53, v53, 2.0, -v60
	v_fma_f16 v80, v99, 2.0, -v55
	ds_write2_b32 v165, v29, v33 offset1:17
	v_pack_b32_f16 v29, v52, v79
	v_pack_b32_f16 v33, v59, v54
	ds_write2_b32 v166, v29, v33 offset1:17
	v_pack_b32_f16 v29, v53, v80
	v_pack_b32_f16 v33, v60, v55
	ds_write2_b32 v167, v29, v33 offset1:17
	s_waitcnt lgkmcnt(0)
	s_barrier
	ds_read2_b32 v[40:41], v27 offset1:119
	ds_read2_b32 v[42:43], v15 offset0:56 offset1:175
	ds_read2_b32 v[46:47], v66 offset0:38 offset1:157
	;; [unrolled: 1-line block ×5, first 2 shown]
	s_waitcnt lgkmcnt(4)
	v_lshrrev_b32_e32 v29, 16, v42
	v_mul_f16_sdwa v69, v70, v29 dst_sel:DWORD dst_unused:UNUSED_PAD src0_sel:WORD_1 src1_sel:DWORD
	v_lshrrev_b32_e32 v56, 16, v43
	v_fma_f16 v69, v70, v42, v69
	v_mul_f16_sdwa v42, v70, v42 dst_sel:DWORD dst_unused:UNUSED_PAD src0_sel:WORD_1 src1_sel:DWORD
	v_fma_f16 v29, v70, v29, -v42
	v_mul_f16_sdwa v42, v71, v56 dst_sel:DWORD dst_unused:UNUSED_PAD src0_sel:WORD_1 src1_sel:DWORD
	s_waitcnt lgkmcnt(3)
	v_lshrrev_b32_e32 v58, 16, v46
	v_fma_f16 v42, v71, v43, v42
	v_mul_f16_sdwa v43, v71, v43 dst_sel:DWORD dst_unused:UNUSED_PAD src0_sel:WORD_1 src1_sel:DWORD
	v_fma_f16 v43, v71, v56, -v43
	v_mul_f16_sdwa v56, v72, v58 dst_sel:DWORD dst_unused:UNUSED_PAD src0_sel:WORD_1 src1_sel:DWORD
	v_lshrrev_b32_e32 v60, 16, v47
	v_fma_f16 v56, v72, v46, v56
	v_mul_f16_sdwa v46, v72, v46 dst_sel:DWORD dst_unused:UNUSED_PAD src0_sel:WORD_1 src1_sel:DWORD
	ds_read2_b32 v[52:53], v83 offset0:74 offset1:193
	ds_read2_b32 v[54:55], v84 offset0:130 offset1:249
	v_fma_f16 v46, v72, v58, -v46
	v_mul_f16_sdwa v58, v73, v60 dst_sel:DWORD dst_unused:UNUSED_PAD src0_sel:WORD_1 src1_sel:DWORD
	s_waitcnt lgkmcnt(4)
	v_lshrrev_b32_e32 v62, 16, v50
	v_fma_f16 v58, v73, v47, v58
	v_mul_f16_sdwa v47, v73, v47 dst_sel:DWORD dst_unused:UNUSED_PAD src0_sel:WORD_1 src1_sel:DWORD
	v_fma_f16 v47, v73, v60, -v47
	v_mul_f16_sdwa v60, v74, v62 dst_sel:DWORD dst_unused:UNUSED_PAD src0_sel:WORD_1 src1_sel:DWORD
	v_lshrrev_b32_e32 v64, 16, v51
	v_fma_f16 v60, v74, v50, v60
	v_mul_f16_sdwa v50, v74, v50 dst_sel:DWORD dst_unused:UNUSED_PAD src0_sel:WORD_1 src1_sel:DWORD
	v_fma_f16 v50, v74, v62, -v50
	v_mul_f16_sdwa v62, v75, v64 dst_sel:DWORD dst_unused:UNUSED_PAD src0_sel:WORD_1 src1_sel:DWORD
	s_waitcnt lgkmcnt(0)
	v_lshrrev_b32_e32 v66, 16, v54
	v_fma_f16 v62, v75, v51, v62
	v_mul_f16_sdwa v51, v75, v51 dst_sel:DWORD dst_unused:UNUSED_PAD src0_sel:WORD_1 src1_sel:DWORD
	v_fma_f16 v51, v75, v64, -v51
	v_mul_f16_sdwa v64, v76, v66 dst_sel:DWORD dst_unused:UNUSED_PAD src0_sel:WORD_1 src1_sel:DWORD
	v_lshrrev_b32_e32 v68, 16, v55
	v_fma_f16 v64, v76, v54, v64
	v_mul_f16_sdwa v54, v76, v54 dst_sel:DWORD dst_unused:UNUSED_PAD src0_sel:WORD_1 src1_sel:DWORD
	v_fma_f16 v54, v76, v66, -v54
	v_mul_f16_sdwa v66, v77, v68 dst_sel:DWORD dst_unused:UNUSED_PAD src0_sel:WORD_1 src1_sel:DWORD
	v_lshrrev_b32_e32 v15, 16, v40
	v_fma_f16 v66, v77, v55, v66
	v_mul_f16_sdwa v55, v77, v55 dst_sel:DWORD dst_unused:UNUSED_PAD src0_sel:WORD_1 src1_sel:DWORD
	v_lshrrev_b32_e32 v33, 16, v41
	v_fma_f16 v55, v77, v68, -v55
	v_sub_f16_e32 v68, v40, v69
	v_sub_f16_e32 v69, v15, v29
	v_lshrrev_b32_e32 v57, 16, v44
	v_fma_f16 v40, v40, 2.0, -v68
	v_fma_f16 v15, v15, 2.0, -v69
	v_sub_f16_e32 v42, v41, v42
	v_sub_f16_e32 v43, v33, v43
	v_lshrrev_b32_e32 v59, 16, v45
	v_fma_f16 v41, v41, 2.0, -v42
	v_fma_f16 v70, v33, 2.0, -v43
	v_sub_f16_e32 v56, v44, v56
	v_sub_f16_e32 v46, v57, v46
	v_pack_b32_f16 v15, v40, v15
	v_pack_b32_f16 v40, v68, v69
	v_lshrrev_b32_e32 v61, 16, v48
	v_fma_f16 v44, v44, 2.0, -v56
	v_fma_f16 v57, v57, 2.0, -v46
	v_sub_f16_e32 v58, v45, v58
	v_sub_f16_e32 v47, v59, v47
	s_barrier
	ds_write2_b32 v168, v15, v40 offset1:34
	v_pack_b32_f16 v15, v41, v70
	v_pack_b32_f16 v40, v42, v43
	v_lshrrev_b32_e32 v63, 16, v49
	v_fma_f16 v45, v45, 2.0, -v58
	v_fma_f16 v59, v59, 2.0, -v47
	v_sub_f16_e32 v60, v48, v60
	v_sub_f16_e32 v50, v61, v50
	ds_write2_b32 v169, v15, v40 offset1:34
	v_pack_b32_f16 v15, v44, v57
	v_pack_b32_f16 v40, v56, v46
	v_lshrrev_b32_e32 v65, 16, v52
	v_fma_f16 v48, v48, 2.0, -v60
	v_fma_f16 v61, v61, 2.0, -v50
	v_sub_f16_e32 v62, v49, v62
	v_sub_f16_e32 v51, v63, v51
	;; [unrolled: 8-line block ×3, first 2 shown]
	ds_write2_b32 v171, v15, v40 offset1:34
	v_pack_b32_f16 v15, v48, v61
	v_pack_b32_f16 v40, v60, v50
	v_fma_f16 v52, v52, 2.0, -v64
	v_fma_f16 v65, v65, 2.0, -v71
	v_sub_f16_e32 v33, v53, v66
	v_sub_f16_e32 v55, v67, v55
	ds_write2_b32 v172, v15, v40 offset1:34
	v_pack_b32_f16 v15, v49, v63
	v_pack_b32_f16 v40, v62, v51
	v_fma_f16 v29, v53, 2.0, -v33
	v_fma_f16 v54, v67, 2.0, -v55
	ds_write2_b32 v173, v15, v40 offset1:34
	v_pack_b32_f16 v15, v52, v65
	v_pack_b32_f16 v40, v64, v71
	ds_write2_b32 v174, v15, v40 offset1:34
	v_pack_b32_f16 v15, v29, v54
	v_pack_b32_f16 v40, v33, v55
	ds_write2_b32 v175, v15, v40 offset1:34
	v_add_u32_e32 v15, 0x400, v27
	s_waitcnt lgkmcnt(0)
	s_barrier
	ds_read2_b32 v[44:45], v15 offset0:16 offset1:135
	v_add_u32_e32 v15, 0x800, v27
	ds_read2_b32 v[46:47], v15 offset0:32 offset1:151
	v_add_u32_e32 v15, 0xc00, v27
	;; [unrolled: 2-line block ×4, first 2 shown]
	ds_read2_b32 v[40:41], v27 offset1:119
	ds_read2_b32 v[52:53], v15 offset0:80 offset1:199
	ds_read2_b32 v[42:43], v84 offset0:96 offset1:215
	s_and_saveexec_b64 s[2:3], s[0:1]
	s_cbranch_execz .LBB0_19
; %bb.18:
	ds_read_b32 v29, v27 offset:952
	ds_read_b32 v33, v27 offset:2040
	;; [unrolled: 1-line block ×7, first 2 shown]
	s_waitcnt lgkmcnt(6)
	v_lshrrev_b32_e32 v54, 16, v29
	s_waitcnt lgkmcnt(5)
	v_lshrrev_b32_e32 v55, 16, v33
	;; [unrolled: 2-line block ×7, first 2 shown]
.LBB0_19:
	s_or_b64 exec, exec, s[2:3]
	s_waitcnt lgkmcnt(6)
	v_lshrrev_b32_e32 v15, 16, v44
	v_mul_f16_sdwa v67, v4, v15 dst_sel:DWORD dst_unused:UNUSED_PAD src0_sel:WORD_1 src1_sel:DWORD
	s_waitcnt lgkmcnt(5)
	v_lshrrev_b32_e32 v56, 16, v46
	v_fma_f16 v67, v4, v44, v67
	v_mul_f16_sdwa v44, v4, v44 dst_sel:DWORD dst_unused:UNUSED_PAD src0_sel:WORD_1 src1_sel:DWORD
	s_waitcnt lgkmcnt(4)
	v_lshrrev_b32_e32 v57, 16, v48
	v_fma_f16 v4, v4, v15, -v44
	v_mul_f16_sdwa v15, v5, v56 dst_sel:DWORD dst_unused:UNUSED_PAD src0_sel:WORD_1 src1_sel:DWORD
	v_mul_f16_sdwa v44, v5, v46 dst_sel:DWORD dst_unused:UNUSED_PAD src0_sel:WORD_1 src1_sel:DWORD
	s_waitcnt lgkmcnt(3)
	v_lshrrev_b32_e32 v58, 16, v50
	v_fma_f16 v15, v5, v46, v15
	v_fma_f16 v5, v5, v56, -v44
	v_mul_f16_sdwa v44, v6, v57 dst_sel:DWORD dst_unused:UNUSED_PAD src0_sel:WORD_1 src1_sel:DWORD
	v_mul_f16_sdwa v46, v6, v48 dst_sel:DWORD dst_unused:UNUSED_PAD src0_sel:WORD_1 src1_sel:DWORD
	s_waitcnt lgkmcnt(1)
	v_lshrrev_b32_e32 v59, 16, v52
	v_fma_f16 v44, v6, v48, v44
	;; [unrolled: 6-line block ×3, first 2 shown]
	v_fma_f16 v7, v7, v58, -v48
	v_mul_f16_sdwa v48, v36, v59 dst_sel:DWORD dst_unused:UNUSED_PAD src0_sel:WORD_1 src1_sel:DWORD
	v_mul_f16_sdwa v50, v36, v52 dst_sel:DWORD dst_unused:UNUSED_PAD src0_sel:WORD_1 src1_sel:DWORD
	v_fma_f16 v48, v36, v52, v48
	v_fma_f16 v36, v36, v59, -v50
	v_mul_f16_sdwa v50, v37, v60 dst_sel:DWORD dst_unused:UNUSED_PAD src0_sel:WORD_1 src1_sel:DWORD
	v_lshrrev_b32_e32 v61, 16, v45
	v_fma_f16 v50, v37, v42, v50
	v_mul_f16_sdwa v42, v37, v42 dst_sel:DWORD dst_unused:UNUSED_PAD src0_sel:WORD_1 src1_sel:DWORD
	v_fma_f16 v37, v37, v60, -v42
	v_mul_f16_sdwa v42, v8, v61 dst_sel:DWORD dst_unused:UNUSED_PAD src0_sel:WORD_1 src1_sel:DWORD
	v_lshrrev_b32_e32 v62, 16, v47
	v_fma_f16 v42, v8, v45, v42
	v_mul_f16_sdwa v45, v8, v45 dst_sel:DWORD dst_unused:UNUSED_PAD src0_sel:WORD_1 src1_sel:DWORD
	;; [unrolled: 5-line block ×5, first 2 shown]
	v_lshrrev_b32_e32 v66, 16, v43
	v_fma_f16 v11, v11, v64, -v51
	v_mul_f16_sdwa v51, v38, v65 dst_sel:DWORD dst_unused:UNUSED_PAD src0_sel:WORD_1 src1_sel:DWORD
	v_mul_f16_sdwa v52, v38, v53 dst_sel:DWORD dst_unused:UNUSED_PAD src0_sel:WORD_1 src1_sel:DWORD
	v_fma_f16 v51, v38, v53, v51
	v_fma_f16 v38, v38, v65, -v52
	v_mul_f16_sdwa v52, v39, v66 dst_sel:DWORD dst_unused:UNUSED_PAD src0_sel:WORD_1 src1_sel:DWORD
	v_fma_f16 v52, v39, v43, v52
	v_mul_f16_sdwa v43, v39, v43 dst_sel:DWORD dst_unused:UNUSED_PAD src0_sel:WORD_1 src1_sel:DWORD
	v_fma_f16 v39, v39, v66, -v43
	v_add_f16_e32 v43, v67, v50
	v_add_f16_e32 v53, v4, v37
	v_sub_f16_e32 v4, v4, v37
	v_add_f16_e32 v37, v15, v48
	v_add_f16_e32 v56, v5, v36
	v_sub_f16_e32 v50, v67, v50
	v_sub_f16_e32 v15, v15, v48
	;; [unrolled: 1-line block ×3, first 2 shown]
	v_add_f16_e32 v36, v44, v46
	v_add_f16_e32 v48, v6, v7
	v_sub_f16_e32 v44, v46, v44
	v_sub_f16_e32 v6, v7, v6
	v_add_f16_e32 v7, v37, v43
	v_add_f16_e32 v46, v56, v53
	v_sub_f16_e32 v57, v37, v43
	v_sub_f16_e32 v58, v56, v53
	;; [unrolled: 1-line block ×6, first 2 shown]
	v_add_f16_e32 v59, v44, v15
	v_add_f16_e32 v60, v6, v5
	v_sub_f16_e32 v61, v44, v15
	v_sub_f16_e32 v62, v6, v5
	;; [unrolled: 1-line block ×4, first 2 shown]
	v_add_f16_e32 v7, v36, v7
	v_add_f16_e32 v36, v48, v46
	v_sub_f16_e32 v44, v50, v44
	v_sub_f16_e32 v6, v4, v6
	v_add_f16_e32 v46, v59, v50
	v_add_f16_e32 v4, v60, v4
	;; [unrolled: 1-line block ×3, first 2 shown]
	v_add_f16_sdwa v40, v40, v36 dst_sel:DWORD dst_unused:UNUSED_PAD src0_sel:WORD_1 src1_sel:DWORD
	v_mul_f16_e32 v43, 0x3a52, v43
	v_mul_f16_e32 v50, 0x3a52, v53
	s_movk_i32 s17, 0x2b26
	v_mul_f16_e32 v53, 0x2b26, v37
	v_mul_f16_e32 v59, 0x2b26, v56
	;; [unrolled: 1-line block ×4, first 2 shown]
	s_mov_b32 s4, 0xbb00
	v_mul_f16_e32 v62, 0xbb00, v15
	v_mul_f16_e32 v63, 0xbb00, v5
	s_mov_b32 s18, 0xbcab
	s_movk_i32 s5, 0x39e0
	s_mov_b32 s6, 0xb9e0
	s_mov_b32 s19, 0xb574
	s_movk_i32 s7, 0x3574
	v_fma_f16 v7, v7, s18, v48
	v_fma_f16 v36, v36, s18, v40
	;; [unrolled: 1-line block ×4, first 2 shown]
	v_fma_f16 v53, v57, s5, -v53
	v_fma_f16 v59, v58, s5, -v59
	;; [unrolled: 1-line block ×4, first 2 shown]
	v_fma_f16 v57, v44, s19, v60
	v_fma_f16 v58, v6, s19, v61
	v_fma_f16 v5, v5, s4, -v61
	v_fma_f16 v44, v44, s7, -v62
	;; [unrolled: 1-line block ×3, first 2 shown]
	s_mov_b32 s16, 0xb70e
	v_fma_f16 v15, v15, s4, -v60
	v_add_f16_e32 v37, v37, v7
	v_add_f16_e32 v56, v56, v36
	;; [unrolled: 1-line block ×6, first 2 shown]
	v_fma_f16 v43, v46, s16, v57
	v_fma_f16 v50, v4, s16, v58
	;; [unrolled: 1-line block ×6, first 2 shown]
	v_add_f16_e32 v6, v50, v37
	v_sub_f16_e32 v46, v56, v43
	v_add_f16_e32 v57, v4, v7
	v_sub_f16_e32 v58, v36, v44
	v_sub_f16_e32 v4, v7, v4
	v_add_f16_e32 v7, v44, v36
	v_sub_f16_e32 v36, v37, v50
	v_add_f16_e32 v37, v43, v56
	v_add_f16_e32 v43, v42, v52
	;; [unrolled: 1-line block ×3, first 2 shown]
	v_sub_f16_e32 v8, v8, v39
	v_add_f16_e32 v39, v45, v51
	v_add_f16_e32 v50, v9, v38
	v_sub_f16_e32 v45, v45, v51
	v_sub_f16_e32 v9, v9, v38
	v_add_f16_e32 v38, v47, v49
	v_add_f16_e32 v51, v10, v11
	v_sub_f16_e32 v47, v49, v47
	;; [unrolled: 4-line block ×3, first 2 shown]
	v_add_f16_e32 v61, v15, v59
	v_add_f16_e32 v5, v5, v53
	v_sub_f16_e32 v15, v59, v15
	v_sub_f16_e32 v42, v42, v52
	;; [unrolled: 1-line block ×8, first 2 shown]
	v_add_f16_e32 v56, v47, v45
	v_add_f16_e32 v59, v10, v9
	v_sub_f16_e32 v62, v47, v45
	v_sub_f16_e32 v63, v10, v9
	v_add_f16_e32 v11, v38, v11
	v_add_f16_e32 v38, v51, v49
	v_sub_f16_e32 v47, v42, v47
	v_sub_f16_e32 v10, v8, v10
	;; [unrolled: 1-line block ×4, first 2 shown]
	v_add_f16_e32 v42, v56, v42
	v_add_f16_e32 v8, v59, v8
	;; [unrolled: 1-line block ×3, first 2 shown]
	v_add_f16_sdwa v41, v41, v38 dst_sel:DWORD dst_unused:UNUSED_PAD src0_sel:WORD_1 src1_sel:DWORD
	v_mul_f16_e32 v43, 0x3a52, v43
	v_mul_f16_e32 v44, 0x3a52, v44
	;; [unrolled: 1-line block ×6, first 2 shown]
	v_pack_b32_f16 v40, v48, v40
	v_pack_b32_f16 v6, v6, v46
	v_mul_f16_e32 v63, 0xbb00, v45
	v_mul_f16_e32 v64, 0xbb00, v9
	v_fma_f16 v11, v11, s18, v49
	v_fma_f16 v38, v38, s18, v41
	;; [unrolled: 1-line block ×4, first 2 shown]
	v_fma_f16 v51, v52, s5, -v51
	v_fma_f16 v56, v53, s5, -v56
	;; [unrolled: 1-line block ×4, first 2 shown]
	v_fma_f16 v52, v47, s19, v59
	v_fma_f16 v53, v10, s19, v62
	s_barrier
	ds_write2_b32 v92, v40, v6 offset1:68
	v_pack_b32_f16 v6, v57, v58
	v_pack_b32_f16 v40, v60, v61
	v_fma_f16 v45, v45, s4, -v59
	v_fma_f16 v9, v9, s4, -v62
	;; [unrolled: 1-line block ×4, first 2 shown]
	v_add_f16_e32 v39, v39, v11
	v_add_f16_e32 v50, v50, v38
	;; [unrolled: 1-line block ×6, first 2 shown]
	v_fma_f16 v43, v42, s16, v52
	v_fma_f16 v44, v8, s16, v53
	ds_write2_b32 v92, v6, v40 offset0:136 offset1:204
	v_pack_b32_f16 v5, v5, v15
	v_pack_b32_f16 v4, v4, v7
	v_add_u32_e32 v6, 0x400, v92
	v_fma_f16 v45, v42, s16, v45
	v_fma_f16 v9, v8, s16, v9
	;; [unrolled: 1-line block ×4, first 2 shown]
	v_add_f16_e32 v10, v44, v39
	v_sub_f16_e32 v47, v50, v43
	ds_write2_b32 v6, v5, v4 offset0:16 offset1:84
	v_pack_b32_f16 v4, v36, v37
	v_add_f16_e32 v52, v8, v11
	v_sub_f16_e32 v53, v38, v42
	v_sub_f16_e32 v59, v51, v9
	v_add_f16_e32 v62, v45, v56
	ds_write_b32 v92, v4 offset:1632
	v_pack_b32_f16 v4, v49, v41
	v_pack_b32_f16 v5, v10, v47
	v_add_f16_e32 v9, v9, v51
	v_sub_f16_e32 v45, v56, v45
	v_sub_f16_e32 v8, v11, v8
	v_add_f16_e32 v11, v42, v38
	ds_write2_b32 v93, v4, v5 offset1:68
	v_pack_b32_f16 v4, v52, v53
	v_pack_b32_f16 v5, v59, v62
	v_sub_f16_e32 v38, v39, v44
	v_add_f16_e32 v39, v43, v50
	ds_write2_b32 v93, v4, v5 offset0:136 offset1:204
	v_pack_b32_f16 v4, v9, v45
	v_pack_b32_f16 v5, v8, v11
	v_add_u32_e32 v6, 0x400, v93
	ds_write2_b32 v6, v4, v5 offset0:16 offset1:84
	v_pack_b32_f16 v4, v38, v39
	ds_write_b32 v93, v4 offset:1632
	s_and_saveexec_b64 s[2:3], s[0:1]
	s_cbranch_execz .LBB0_21
; %bb.20:
	v_mul_f16_sdwa v8, v2, v88 dst_sel:DWORD dst_unused:UNUSED_PAD src0_sel:WORD_1 src1_sel:DWORD
	v_mul_f16_sdwa v4, v0, v55 dst_sel:DWORD dst_unused:UNUSED_PAD src0_sel:WORD_1 src1_sel:DWORD
	;; [unrolled: 1-line block ×3, first 2 shown]
	v_fma_f16 v8, v2, v19, v8
	v_mul_f16_sdwa v11, v1, v96 dst_sel:DWORD dst_unused:UNUSED_PAD src0_sel:WORD_1 src1_sel:DWORD
	v_mul_f16_sdwa v39, v35, v90 dst_sel:DWORD dst_unused:UNUSED_PAD src0_sel:WORD_1 src1_sel:DWORD
	;; [unrolled: 1-line block ×3, first 2 shown]
	v_fma_f16 v4, v0, v33, v4
	v_fma_f16 v5, v35, v90, v5
	v_mul_f16_sdwa v7, v3, v89 dst_sel:DWORD dst_unused:UNUSED_PAD src0_sel:WORD_1 src1_sel:DWORD
	v_fma_f16 v11, v1, v31, v11
	v_mul_f16_sdwa v15, v34, v87 dst_sel:DWORD dst_unused:UNUSED_PAD src0_sel:WORD_1 src1_sel:DWORD
	v_fma_f16 v35, v35, v91, -v39
	v_mul_f16_sdwa v33, v0, v33 dst_sel:DWORD dst_unused:UNUSED_PAD src0_sel:WORD_1 src1_sel:DWORD
	v_fma_f16 v2, v2, v88, -v19
	v_mul_f16_sdwa v19, v3, v23 dst_sel:DWORD dst_unused:UNUSED_PAD src0_sel:WORD_1 src1_sel:DWORD
	v_mul_f16_sdwa v39, v34, v86 dst_sel:DWORD dst_unused:UNUSED_PAD src0_sel:WORD_1 src1_sel:DWORD
	;; [unrolled: 1-line block ×3, first 2 shown]
	v_fma_f16 v7, v3, v23, v7
	v_fma_f16 v15, v34, v86, v15
	v_fma_f16 v0, v0, v55, -v33
	v_fma_f16 v3, v3, v89, -v19
	;; [unrolled: 1-line block ×4, first 2 shown]
	v_add_f16_e32 v33, v35, v0
	v_add_f16_e32 v19, v2, v3
	;; [unrolled: 1-line block ×3, first 2 shown]
	v_sub_f16_e32 v0, v0, v35
	v_sub_f16_e32 v2, v3, v2
	;; [unrolled: 1-line block ×6, first 2 shown]
	v_add_f16_e32 v4, v5, v4
	v_add_f16_e32 v5, v8, v7
	;; [unrolled: 1-line block ×3, first 2 shown]
	v_sub_f16_e32 v3, v0, v2
	v_sub_f16_e32 v34, v2, v1
	v_add_f16_e32 v2, v2, v1
	v_sub_f16_e32 v10, v6, v9
	v_sub_f16_e32 v37, v9, v36
	v_add_f16_e32 v9, v9, v36
	v_add_f16_e32 v41, v31, v33
	v_add_f16_e32 v43, v8, v4
	v_add_f16_e32 v2, v2, v0
	v_sub_f16_e32 v0, v1, v0
	v_add_f16_e32 v9, v9, v6
	v_sub_f16_e32 v23, v33, v19
	v_sub_f16_e32 v39, v19, v31
	v_add_f16_e32 v19, v19, v41
	v_sub_f16_e32 v7, v4, v5
	v_sub_f16_e32 v11, v5, v8
	v_add_f16_e32 v5, v5, v43
	v_mul_f16_e32 v34, 0x3846, v34
	v_sub_f16_e32 v6, v36, v6
	v_mul_f16_e32 v1, 0xbb00, v0
	v_mul_f16_e32 v37, 0x3846, v37
	;; [unrolled: 1-line block ×4, first 2 shown]
	v_add_f16_e32 v41, v54, v19
	v_mul_f16_e32 v7, 0x3a52, v7
	v_mul_f16_e32 v15, 0x2b26, v11
	v_add_f16_e32 v29, v29, v5
	v_fma_f16 v35, v3, s19, v34
	v_mul_f16_e32 v36, 0xbb00, v6
	v_sub_f16_e32 v31, v31, v33
	v_sub_f16_e32 v4, v8, v4
	v_fma_f16 v1, v3, s7, -v1
	v_fma_f16 v0, v0, s4, -v34
	v_fma_f16 v38, v10, s19, v37
	v_fma_f16 v39, v39, s17, v23
	;; [unrolled: 1-line block ×6, first 2 shown]
	v_fma_f16 v10, v10, s7, -v36
	v_fma_f16 v23, v31, s6, -v23
	;; [unrolled: 1-line block ×3, first 2 shown]
	v_fma_f16 v1, v2, s16, v1
	v_fma_f16 v8, v31, s5, -v40
	v_fma_f16 v6, v6, s4, -v37
	v_fma_f16 v0, v2, s16, v0
	v_fma_f16 v2, v4, s5, -v15
	v_fma_f16 v10, v9, s16, v10
	v_add_f16_e32 v23, v23, v19
	v_add_f16_e32 v7, v7, v5
	;; [unrolled: 1-line block ×3, first 2 shown]
	v_fma_f16 v6, v9, s16, v6
	v_add_f16_e32 v2, v2, v5
	v_add_f16_e32 v11, v11, v5
	v_sub_f16_e32 v3, v7, v1
	v_add_f16_e32 v4, v0, v2
	v_add_f16_e32 v5, v6, v8
	v_sub_f16_e32 v0, v2, v0
	v_sub_f16_e32 v2, v23, v10
	v_add_f16_e32 v1, v1, v7
	v_fma_f16 v38, v9, s16, v38
	v_add_f16_e32 v39, v39, v19
	v_add_f16_e32 v33, v10, v23
	v_sub_f16_e32 v9, v8, v6
	v_pack_b32_f16 v1, v1, v2
	v_pack_b32_f16 v0, v0, v5
	v_add_u32_e32 v2, 0x1800, v159
	v_add_f16_e32 v42, v38, v39
	v_sub_f16_e32 v43, v11, v35
	v_sub_f16_e32 v6, v39, v38
	v_add_f16_e32 v7, v35, v11
	ds_write2_b32 v2, v1, v0 offset0:28 offset1:96
	v_pack_b32_f16 v0, v4, v9
	v_pack_b32_f16 v1, v3, v33
	;; [unrolled: 1-line block ×4, first 2 shown]
	v_add_u32_e32 v7, 0x1400, v159
	ds_write2_b32 v2, v0, v1 offset0:164 offset1:232
	v_pack_b32_f16 v0, v43, v42
	ds_write2_b32 v7, v8, v6 offset0:148 offset1:216
	ds_write_b32 v159, v0 offset:7344
.LBB0_21:
	s_or_b64 exec, exec, s[2:3]
	v_add_u32_e32 v15, 0x600, v27
	s_waitcnt lgkmcnt(0)
	s_barrier
	ds_read2_b32 v[2:3], v15 offset0:92 offset1:211
	v_add_u32_e32 v19, 0xe00, v27
	ds_read2_b32 v[4:5], v19 offset0:56 offset1:175
	v_add_u32_e32 v23, 0x1600, v27
	ds_read2_b32 v[6:7], v23 offset0:20 offset1:139
	s_waitcnt lgkmcnt(2)
	v_lshrrev_b32_e32 v31, 16, v2
	v_mul_f16_sdwa v55, v12, v31 dst_sel:DWORD dst_unused:UNUSED_PAD src0_sel:WORD_1 src1_sel:DWORD
	s_waitcnt lgkmcnt(1)
	v_lshrrev_b32_e32 v33, 16, v4
	v_fma_f16 v55, v12, v2, v55
	v_mul_f16_sdwa v2, v12, v2 dst_sel:DWORD dst_unused:UNUSED_PAD src0_sel:WORD_1 src1_sel:DWORD
	v_fma_f16 v2, v12, v31, -v2
	v_mul_f16_sdwa v12, v13, v33 dst_sel:DWORD dst_unused:UNUSED_PAD src0_sel:WORD_1 src1_sel:DWORD
	s_waitcnt lgkmcnt(0)
	v_lshrrev_b32_e32 v38, 16, v6
	v_fma_f16 v12, v13, v4, v12
	v_mul_f16_sdwa v4, v13, v4 dst_sel:DWORD dst_unused:UNUSED_PAD src0_sel:WORD_1 src1_sel:DWORD
	v_fma_f16 v4, v13, v33, -v4
	v_mul_f16_sdwa v13, v14, v38 dst_sel:DWORD dst_unused:UNUSED_PAD src0_sel:WORD_1 src1_sel:DWORD
	v_lshrrev_b32_e32 v40, 16, v3
	v_add_u32_e32 v43, 0xa00, v27
	v_fma_f16 v13, v14, v6, v13
	v_mul_f16_sdwa v6, v14, v6 dst_sel:DWORD dst_unused:UNUSED_PAD src0_sel:WORD_1 src1_sel:DWORD
	ds_read2_b32 v[10:11], v43 offset0:74 offset1:193
	v_fma_f16 v6, v14, v38, -v6
	v_mul_f16_sdwa v14, v16, v40 dst_sel:DWORD dst_unused:UNUSED_PAD src0_sel:WORD_1 src1_sel:DWORD
	v_lshrrev_b32_e32 v41, 16, v5
	v_add_u32_e32 v44, 0x1200, v27
	v_fma_f16 v14, v16, v3, v14
	v_mul_f16_sdwa v3, v16, v3 dst_sel:DWORD dst_unused:UNUSED_PAD src0_sel:WORD_1 src1_sel:DWORD
	ds_read2_b32 v[34:35], v44 offset0:38 offset1:157
	v_add_u32_e32 v45, 0x1800, v27
	v_fma_f16 v3, v16, v40, -v3
	v_mul_f16_sdwa v16, v17, v41 dst_sel:DWORD dst_unused:UNUSED_PAD src0_sel:WORD_1 src1_sel:DWORD
	ds_read2_b32 v[36:37], v45 offset0:130 offset1:249
	v_lshrrev_b32_e32 v46, 16, v7
	v_fma_f16 v16, v17, v5, v16
	v_mul_f16_sdwa v5, v17, v5 dst_sel:DWORD dst_unused:UNUSED_PAD src0_sel:WORD_1 src1_sel:DWORD
	v_fma_f16 v5, v17, v41, -v5
	v_mul_f16_sdwa v17, v18, v46 dst_sel:DWORD dst_unused:UNUSED_PAD src0_sel:WORD_1 src1_sel:DWORD
	s_waitcnt lgkmcnt(2)
	v_lshrrev_b32_e32 v48, 16, v10
	v_fma_f16 v17, v18, v7, v17
	v_mul_f16_sdwa v7, v18, v7 dst_sel:DWORD dst_unused:UNUSED_PAD src0_sel:WORD_1 src1_sel:DWORD
	v_fma_f16 v7, v18, v46, -v7
	v_mul_f16_sdwa v18, v20, v48 dst_sel:DWORD dst_unused:UNUSED_PAD src0_sel:WORD_1 src1_sel:DWORD
	ds_read2_b32 v[0:1], v27 offset1:119
	s_waitcnt lgkmcnt(2)
	v_lshrrev_b32_e32 v49, 16, v34
	v_fma_f16 v18, v20, v10, v18
	v_mul_f16_sdwa v10, v20, v10 dst_sel:DWORD dst_unused:UNUSED_PAD src0_sel:WORD_1 src1_sel:DWORD
	s_waitcnt lgkmcnt(1)
	v_lshrrev_b32_e32 v50, 16, v36
	v_fma_f16 v10, v20, v48, -v10
	v_mul_f16_sdwa v20, v21, v49 dst_sel:DWORD dst_unused:UNUSED_PAD src0_sel:WORD_1 src1_sel:DWORD
	v_mul_f16_sdwa v31, v21, v34 dst_sel:DWORD dst_unused:UNUSED_PAD src0_sel:WORD_1 src1_sel:DWORD
	v_lshrrev_b32_e32 v52, 16, v11
	v_fma_f16 v20, v21, v34, v20
	v_fma_f16 v21, v21, v49, -v31
	v_mul_f16_sdwa v31, v22, v50 dst_sel:DWORD dst_unused:UNUSED_PAD src0_sel:WORD_1 src1_sel:DWORD
	v_mul_f16_sdwa v33, v22, v36 dst_sel:DWORD dst_unused:UNUSED_PAD src0_sel:WORD_1 src1_sel:DWORD
	v_add_u32_e32 v42, 0x200, v27
	v_fma_f16 v31, v22, v36, v31
	v_fma_f16 v22, v22, v50, -v33
	v_mul_f16_sdwa v33, v24, v52 dst_sel:DWORD dst_unused:UNUSED_PAD src0_sel:WORD_1 src1_sel:DWORD
	ds_read2_b32 v[8:9], v42 offset0:110 offset1:229
	v_lshrrev_b32_e32 v53, 16, v35
	v_fma_f16 v33, v24, v11, v33
	v_mul_f16_sdwa v11, v24, v11 dst_sel:DWORD dst_unused:UNUSED_PAD src0_sel:WORD_1 src1_sel:DWORD
	s_waitcnt lgkmcnt(1)
	v_lshrrev_b32_e32 v29, 16, v0
	v_lshrrev_b32_e32 v39, 16, v1
	;; [unrolled: 1-line block ×3, first 2 shown]
	v_fma_f16 v11, v24, v52, -v11
	v_mul_f16_sdwa v24, v25, v53 dst_sel:DWORD dst_unused:UNUSED_PAD src0_sel:WORD_1 src1_sel:DWORD
	v_mul_f16_sdwa v34, v25, v35 dst_sel:DWORD dst_unused:UNUSED_PAD src0_sel:WORD_1 src1_sel:DWORD
	v_fma_f16 v24, v25, v35, v24
	v_fma_f16 v25, v25, v53, -v34
	v_mul_f16_sdwa v34, v26, v54 dst_sel:DWORD dst_unused:UNUSED_PAD src0_sel:WORD_1 src1_sel:DWORD
	v_mul_f16_sdwa v35, v26, v37 dst_sel:DWORD dst_unused:UNUSED_PAD src0_sel:WORD_1 src1_sel:DWORD
	v_sub_f16_e32 v12, v0, v12
	v_sub_f16_e32 v4, v29, v4
	;; [unrolled: 1-line block ×8, first 2 shown]
	v_fma_f16 v34, v26, v37, v34
	v_fma_f16 v26, v26, v54, -v35
	v_fma_f16 v0, v0, 2.0, -v12
	v_fma_f16 v29, v29, 2.0, -v4
	;; [unrolled: 1-line block ×8, first 2 shown]
	v_sub_f16_e32 v35, v0, v35
	v_sub_f16_e32 v2, v29, v2
	;; [unrolled: 1-line block ×4, first 2 shown]
	s_waitcnt lgkmcnt(0)
	v_lshrrev_b32_e32 v47, 16, v8
	v_lshrrev_b32_e32 v51, 16, v9
	v_fma_f16 v0, v0, 2.0, -v35
	v_fma_f16 v29, v29, 2.0, -v2
	v_add_f16_e32 v6, v12, v6
	v_sub_f16_e32 v13, v4, v13
	v_fma_f16 v1, v1, 2.0, -v14
	v_fma_f16 v36, v36, 2.0, -v3
	v_add_f16_e32 v7, v16, v7
	v_sub_f16_e32 v17, v5, v17
	v_fma_f16 v12, v12, 2.0, -v6
	v_fma_f16 v4, v4, 2.0, -v13
	v_fma_f16 v16, v16, 2.0, -v7
	v_fma_f16 v5, v5, 2.0, -v17
	v_sub_f16_e32 v20, v8, v20
	v_sub_f16_e32 v21, v47, v21
	;; [unrolled: 1-line block ×8, first 2 shown]
	v_pack_b32_f16 v0, v0, v29
	v_pack_b32_f16 v1, v1, v36
	v_fma_f16 v8, v8, 2.0, -v20
	v_fma_f16 v37, v47, 2.0, -v21
	;; [unrolled: 1-line block ×8, first 2 shown]
	v_pack_b32_f16 v4, v12, v4
	ds_write2_b32 v27, v0, v1 offset1:119
	v_pack_b32_f16 v0, v16, v5
	v_sub_f16_e32 v18, v8, v18
	v_sub_f16_e32 v10, v37, v10
	;; [unrolled: 1-line block ×4, first 2 shown]
	v_pack_b32_f16 v2, v35, v2
	ds_write2_b32 v15, v4, v0 offset0:92 offset1:211
	v_pack_b32_f16 v0, v14, v3
	v_fma_f16 v8, v8, 2.0, -v18
	v_fma_f16 v37, v37, 2.0, -v10
	v_add_f16_e32 v22, v20, v22
	v_sub_f16_e32 v31, v21, v31
	v_fma_f16 v9, v9, 2.0, -v33
	v_fma_f16 v38, v38, 2.0, -v11
	v_add_f16_e32 v26, v24, v26
	v_sub_f16_e32 v34, v25, v34
	v_pack_b32_f16 v6, v6, v13
	ds_write2_b32 v19, v2, v0 offset0:56 offset1:175
	v_pack_b32_f16 v0, v7, v17
	v_fma_f16 v20, v20, 2.0, -v22
	v_fma_f16 v21, v21, 2.0, -v31
	;; [unrolled: 1-line block ×4, first 2 shown]
	ds_write2_b32 v23, v6, v0 offset0:20 offset1:139
	v_pack_b32_f16 v0, v8, v37
	v_pack_b32_f16 v4, v9, v38
	;; [unrolled: 1-line block ×3, first 2 shown]
	ds_write2_b32 v42, v0, v4 offset0:110 offset1:229
	v_pack_b32_f16 v0, v24, v25
	v_pack_b32_f16 v2, v18, v10
	ds_write2_b32 v43, v1, v0 offset0:74 offset1:193
	v_pack_b32_f16 v0, v33, v11
	v_pack_b32_f16 v3, v22, v31
	ds_write2_b32 v44, v2, v0 offset0:38 offset1:157
	v_pack_b32_f16 v0, v26, v34
	ds_write2_b32 v45, v3, v0 offset0:130 offset1:249
	s_waitcnt lgkmcnt(0)
	s_barrier
	s_and_b64 exec, exec, vcc
	s_cbranch_execz .LBB0_23
; %bb.22:
	global_load_dword v7, v30, s[12:13]
	ds_read_b32 v12, v27
	v_mad_u64_u32 v[2:3], s[0:1], s10, v32, 0
	v_mad_u64_u32 v[4:5], s[0:1], s8, v28, 0
	v_mov_b32_e32 v8, v3
	s_waitcnt lgkmcnt(0)
	v_lshrrev_b32_e32 v3, 16, v12
	v_mov_b32_e32 v10, v5
	v_mad_u64_u32 v[8:9], s[0:1], s11, v32, v[8:9]
	v_mad_u64_u32 v[10:11], s[0:1], s9, v28, v[10:11]
	s_mov_b32 s6, 0x1135c811
	s_mov_b32 s7, 0x3f4135c8
	s_movk_i32 s16, 0x1ff
	v_mov_b32_e32 v1, s15
	s_movk_i32 s15, 0xffe
	v_mov_b32_e32 v6, 0x7c00
	;; [unrolled: 2-line block ×3, first 2 shown]
	s_mov_b32 s14, 0x8000
	s_mov_b32 s17, 0xffff
	s_mul_i32 s11, s9, 0x1c0
	v_mov_b32_e32 v31, 0
	s_waitcnt vmcnt(0)
	v_mul_f16_sdwa v5, v3, v7 dst_sel:DWORD dst_unused:UNUSED_PAD src0_sel:DWORD src1_sel:WORD_1
	v_mul_f16_sdwa v9, v12, v7 dst_sel:DWORD dst_unused:UNUSED_PAD src0_sel:DWORD src1_sel:WORD_1
	v_fma_f16 v5, v12, v7, v5
	v_fma_f16 v3, v7, v3, -v9
	v_cvt_f32_f16_e32 v7, v5
	v_cvt_f32_f16_e32 v11, v3
	v_mov_b32_e32 v3, v8
	v_mov_b32_e32 v5, v10
	v_cvt_f64_f32_e32 v[8:9], v7
	v_cvt_f64_f32_e32 v[10:11], v11
	v_mul_f64 v[8:9], v[8:9], s[6:7]
	v_mul_f64 v[10:11], v[10:11], s[6:7]
	v_and_or_b32 v7, v9, s16, v8
	v_and_or_b32 v10, v11, s16, v10
	v_cmp_ne_u32_e32 vcc, 0, v7
	v_lshrrev_b32_e32 v8, 8, v9
	v_bfe_u32 v12, v9, 20, 11
	v_cndmask_b32_e64 v7, 0, 1, vcc
	v_cmp_ne_u32_e32 vcc, 0, v10
	v_lshrrev_b32_e32 v13, 8, v11
	v_bfe_u32 v14, v11, 20, 11
	v_sub_u32_e32 v15, 0x3f1, v12
	v_cndmask_b32_e64 v10, 0, 1, vcc
	v_and_or_b32 v7, v8, s15, v7
	v_sub_u32_e32 v16, 0x3f1, v14
	v_med3_i32 v8, v15, 0, 13
	v_and_or_b32 v10, v13, s15, v10
	v_or_b32_e32 v15, 0x1000, v7
	v_add_u32_e32 v12, 0xfffffc10, v12
	v_med3_i32 v13, v16, 0, 13
	v_cmp_ne_u32_e32 vcc, 0, v7
	v_or_b32_e32 v17, 0x1000, v10
	v_lshrrev_b32_e32 v19, v8, v15
	v_add_u32_e32 v14, 0xfffffc10, v14
	v_lshl_or_b32 v16, v12, 12, v7
	v_cndmask_b32_e64 v7, 0, 1, vcc
	v_cmp_ne_u32_e32 vcc, 0, v10
	v_lshrrev_b32_e32 v20, v13, v17
	v_lshlrev_b32_e32 v8, v8, v19
	v_lshl_or_b32 v18, v14, 12, v10
	v_cndmask_b32_e64 v10, 0, 1, vcc
	v_lshlrev_b32_e32 v13, v13, v20
	v_cmp_ne_u32_e32 vcc, v8, v15
	v_lshl_or_b32 v7, v7, 9, v6
	v_lshl_or_b32 v10, v10, 9, v6
	v_cndmask_b32_e64 v8, 0, 1, vcc
	v_cmp_ne_u32_e32 vcc, v13, v17
	v_or_b32_e32 v8, v19, v8
	v_and_b32_sdwa v9, v9, s14 dst_sel:DWORD dst_unused:UNUSED_PAD src0_sel:WORD_1 src1_sel:DWORD
	v_cndmask_b32_e64 v13, 0, 1, vcc
	v_cmp_gt_i32_e32 vcc, 1, v12
	v_or_b32_e32 v13, v20, v13
	v_lshrrev_b32_e32 v11, 16, v11
	v_cndmask_b32_e32 v8, v16, v8, vcc
	v_cmp_gt_i32_e32 vcc, 1, v14
	v_and_b32_e32 v15, 7, v8
	v_cmp_eq_u32_e64 s[0:1], 3, v15
	v_cndmask_b32_e32 v13, v18, v13, vcc
	v_cmp_lt_i32_e32 vcc, 5, v15
	v_lshrrev_b32_e32 v8, 2, v8
	v_and_b32_e32 v16, 7, v13
	s_or_b64 vcc, s[0:1], vcc
	v_cmp_lt_i32_e64 s[2:3], 5, v16
	v_cmp_eq_u32_e64 s[4:5], 3, v16
	v_addc_co_u32_e32 v8, vcc, 0, v8, vcc
	v_lshrrev_b32_e32 v13, 2, v13
	s_or_b64 vcc, s[4:5], s[2:3]
	v_addc_co_u32_e32 v13, vcc, 0, v13, vcc
	v_cmp_gt_i32_e32 vcc, 31, v12
	v_lshl_add_u64 v[0:1], v[2:3], 2, v[0:1]
	v_lshl_add_u64 v[2:3], v[4:5], 2, v[0:1]
	v_cndmask_b32_e32 v8, v6, v8, vcc
	v_cmp_gt_i32_e32 vcc, 31, v14
	ds_read2_b32 v[4:5], v30 offset0:112 offset1:224
	s_nop 0
	v_cndmask_b32_e32 v13, v6, v13, vcc
	v_cmp_eq_u32_e32 vcc, s10, v12
	s_nop 1
	v_cndmask_b32_e32 v7, v8, v7, vcc
	v_cmp_eq_u32_e32 vcc, s10, v14
	v_bitop3_b32 v7, v9, s17, v7 bitop3:0xc8
	s_waitcnt lgkmcnt(0)
	v_lshrrev_b32_e32 v9, 16, v4
	v_cndmask_b32_e32 v8, v13, v10, vcc
	v_and_or_b32 v8, v11, s14, v8
	v_lshl_or_b32 v7, v8, 16, v7
	global_store_dword v[2:3], v7, off
	global_load_dword v8, v30, s[12:13] offset:448
	v_mov_b32_e32 v7, 0x1c0
	v_mad_u64_u32 v[2:3], s[0:1], s8, v7, v[2:3]
	v_add_u32_e32 v3, s11, v3
	s_waitcnt vmcnt(0)
	v_mul_f16_sdwa v10, v9, v8 dst_sel:DWORD dst_unused:UNUSED_PAD src0_sel:DWORD src1_sel:WORD_1
	v_mul_f16_sdwa v11, v4, v8 dst_sel:DWORD dst_unused:UNUSED_PAD src0_sel:DWORD src1_sel:WORD_1
	v_fma_f16 v4, v4, v8, v10
	v_fma_f16 v8, v8, v9, -v11
	v_cvt_f32_f16_e32 v4, v4
	v_cvt_f32_f16_e32 v10, v8
	v_cvt_f64_f32_e32 v[8:9], v4
	v_cvt_f64_f32_e32 v[10:11], v10
	v_mul_f64 v[8:9], v[8:9], s[6:7]
	v_mul_f64 v[10:11], v[10:11], s[6:7]
	v_and_or_b32 v4, v9, s16, v8
	v_and_or_b32 v10, v11, s16, v10
	v_cmp_ne_u32_e32 vcc, 0, v4
	v_lshrrev_b32_e32 v8, 8, v9
	v_bfe_u32 v12, v9, 20, 11
	v_cndmask_b32_e64 v4, 0, 1, vcc
	v_cmp_ne_u32_e32 vcc, 0, v10
	v_lshrrev_b32_e32 v13, 8, v11
	v_bfe_u32 v14, v11, 20, 11
	v_sub_u32_e32 v15, 0x3f1, v12
	v_cndmask_b32_e64 v10, 0, 1, vcc
	v_and_or_b32 v4, v8, s15, v4
	v_sub_u32_e32 v16, 0x3f1, v14
	v_med3_i32 v8, v15, 0, 13
	v_and_or_b32 v10, v13, s15, v10
	v_or_b32_e32 v15, 0x1000, v4
	v_add_u32_e32 v12, 0xfffffc10, v12
	v_med3_i32 v13, v16, 0, 13
	v_cmp_ne_u32_e32 vcc, 0, v4
	v_or_b32_e32 v17, 0x1000, v10
	v_lshrrev_b32_e32 v19, v8, v15
	v_add_u32_e32 v14, 0xfffffc10, v14
	v_lshl_or_b32 v16, v12, 12, v4
	v_cndmask_b32_e64 v4, 0, 1, vcc
	v_cmp_ne_u32_e32 vcc, 0, v10
	v_lshrrev_b32_e32 v20, v13, v17
	v_lshlrev_b32_e32 v8, v8, v19
	v_lshl_or_b32 v18, v14, 12, v10
	v_cndmask_b32_e64 v10, 0, 1, vcc
	v_lshlrev_b32_e32 v13, v13, v20
	v_cmp_ne_u32_e32 vcc, v8, v15
	v_lshl_or_b32 v4, v4, 9, v6
	v_lshl_or_b32 v10, v10, 9, v6
	v_cndmask_b32_e64 v8, 0, 1, vcc
	v_cmp_ne_u32_e32 vcc, v13, v17
	v_or_b32_e32 v8, v19, v8
	v_and_b32_sdwa v9, v9, s14 dst_sel:DWORD dst_unused:UNUSED_PAD src0_sel:WORD_1 src1_sel:DWORD
	v_cndmask_b32_e64 v13, 0, 1, vcc
	v_cmp_gt_i32_e32 vcc, 1, v12
	v_or_b32_e32 v13, v20, v13
	v_lshrrev_b32_e32 v11, 16, v11
	v_cndmask_b32_e32 v8, v16, v8, vcc
	v_cmp_gt_i32_e32 vcc, 1, v14
	v_and_b32_e32 v15, 7, v8
	v_cmp_eq_u32_e64 s[0:1], 3, v15
	v_cndmask_b32_e32 v13, v18, v13, vcc
	v_cmp_lt_i32_e32 vcc, 5, v15
	v_lshrrev_b32_e32 v8, 2, v8
	v_and_b32_e32 v16, 7, v13
	s_or_b64 vcc, s[0:1], vcc
	v_cmp_lt_i32_e64 s[2:3], 5, v16
	v_cmp_eq_u32_e64 s[4:5], 3, v16
	v_addc_co_u32_e32 v8, vcc, 0, v8, vcc
	v_lshrrev_b32_e32 v13, 2, v13
	s_or_b64 vcc, s[4:5], s[2:3]
	v_addc_co_u32_e32 v13, vcc, 0, v13, vcc
	v_cmp_gt_i32_e32 vcc, 31, v12
	s_nop 1
	v_cndmask_b32_e32 v8, v6, v8, vcc
	v_cmp_gt_i32_e32 vcc, 31, v14
	s_nop 1
	v_cndmask_b32_e32 v13, v6, v13, vcc
	v_cmp_eq_u32_e32 vcc, s10, v12
	s_nop 1
	v_cndmask_b32_e32 v4, v8, v4, vcc
	v_cmp_eq_u32_e32 vcc, s10, v14
	v_bitop3_b32 v4, v9, s17, v4 bitop3:0xc8
	s_nop 0
	v_cndmask_b32_e32 v8, v13, v10, vcc
	v_and_or_b32 v8, v11, s14, v8
	v_lshl_or_b32 v4, v8, 16, v4
	global_store_dword v[2:3], v4, off
	global_load_dword v4, v30, s[12:13] offset:896
	v_lshrrev_b32_e32 v8, 16, v5
	v_mad_u64_u32 v[2:3], s[0:1], s8, v7, v[2:3]
	v_add_u32_e32 v3, s11, v3
	s_waitcnt vmcnt(0)
	v_mul_f16_sdwa v9, v8, v4 dst_sel:DWORD dst_unused:UNUSED_PAD src0_sel:DWORD src1_sel:WORD_1
	v_mul_f16_sdwa v10, v5, v4 dst_sel:DWORD dst_unused:UNUSED_PAD src0_sel:DWORD src1_sel:WORD_1
	v_fma_f16 v5, v5, v4, v9
	v_fma_f16 v4, v4, v8, -v10
	v_cvt_f32_f16_e32 v5, v5
	v_cvt_f32_f16_e32 v8, v4
	v_cvt_f64_f32_e32 v[4:5], v5
	v_cvt_f64_f32_e32 v[8:9], v8
	v_mul_f64 v[4:5], v[4:5], s[6:7]
	v_mul_f64 v[8:9], v[8:9], s[6:7]
	v_and_or_b32 v4, v5, s16, v4
	v_and_or_b32 v8, v9, s16, v8
	v_cmp_ne_u32_e32 vcc, 0, v4
	v_lshrrev_b32_e32 v10, 8, v5
	v_bfe_u32 v11, v5, 20, 11
	v_cndmask_b32_e64 v4, 0, 1, vcc
	v_cmp_ne_u32_e32 vcc, 0, v8
	v_lshrrev_b32_e32 v12, 8, v9
	v_bfe_u32 v13, v9, 20, 11
	v_sub_u32_e32 v14, 0x3f1, v11
	v_cndmask_b32_e64 v8, 0, 1, vcc
	v_and_or_b32 v4, v10, s15, v4
	v_sub_u32_e32 v15, 0x3f1, v13
	v_med3_i32 v10, v14, 0, 13
	v_and_or_b32 v8, v12, s15, v8
	v_or_b32_e32 v14, 0x1000, v4
	v_add_u32_e32 v11, 0xfffffc10, v11
	v_med3_i32 v12, v15, 0, 13
	v_cmp_ne_u32_e32 vcc, 0, v4
	v_or_b32_e32 v16, 0x1000, v8
	v_lshrrev_b32_e32 v18, v10, v14
	v_add_u32_e32 v13, 0xfffffc10, v13
	v_lshl_or_b32 v15, v11, 12, v4
	v_cndmask_b32_e64 v4, 0, 1, vcc
	v_cmp_ne_u32_e32 vcc, 0, v8
	v_lshrrev_b32_e32 v19, v12, v16
	v_lshlrev_b32_e32 v10, v10, v18
	v_lshl_or_b32 v17, v13, 12, v8
	v_cndmask_b32_e64 v8, 0, 1, vcc
	v_lshlrev_b32_e32 v12, v12, v19
	v_cmp_ne_u32_e32 vcc, v10, v14
	v_lshl_or_b32 v4, v4, 9, v6
	v_lshl_or_b32 v8, v8, 9, v6
	v_cndmask_b32_e64 v10, 0, 1, vcc
	v_cmp_ne_u32_e32 vcc, v12, v16
	v_or_b32_e32 v10, v18, v10
	v_and_b32_sdwa v5, v5, s14 dst_sel:DWORD dst_unused:UNUSED_PAD src0_sel:WORD_1 src1_sel:DWORD
	v_cndmask_b32_e64 v12, 0, 1, vcc
	v_cmp_gt_i32_e32 vcc, 1, v11
	v_or_b32_e32 v12, v19, v12
	v_lshrrev_b32_e32 v9, 16, v9
	v_cndmask_b32_e32 v10, v15, v10, vcc
	v_cmp_gt_i32_e32 vcc, 1, v13
	v_and_b32_e32 v14, 7, v10
	v_cmp_eq_u32_e64 s[0:1], 3, v14
	v_cndmask_b32_e32 v12, v17, v12, vcc
	v_cmp_lt_i32_e32 vcc, 5, v14
	v_lshrrev_b32_e32 v10, 2, v10
	v_and_b32_e32 v15, 7, v12
	s_or_b64 vcc, s[0:1], vcc
	v_cmp_lt_i32_e64 s[2:3], 5, v15
	v_cmp_eq_u32_e64 s[4:5], 3, v15
	v_addc_co_u32_e32 v10, vcc, 0, v10, vcc
	v_lshrrev_b32_e32 v12, 2, v12
	s_or_b64 vcc, s[4:5], s[2:3]
	v_addc_co_u32_e32 v12, vcc, 0, v12, vcc
	v_cmp_gt_i32_e32 vcc, 31, v11
	s_nop 1
	v_cndmask_b32_e32 v10, v6, v10, vcc
	v_cmp_gt_i32_e32 vcc, 31, v13
	s_nop 1
	v_cndmask_b32_e32 v12, v6, v12, vcc
	v_cmp_eq_u32_e32 vcc, s10, v11
	s_nop 1
	v_cndmask_b32_e32 v4, v10, v4, vcc
	v_cmp_eq_u32_e32 vcc, s10, v13
	v_bitop3_b32 v4, v5, s17, v4 bitop3:0xc8
	s_nop 0
	v_cndmask_b32_e32 v8, v12, v8, vcc
	v_and_or_b32 v8, v9, s14, v8
	v_lshl_or_b32 v4, v8, 16, v4
	global_store_dword v[2:3], v4, off
	global_load_dword v8, v30, s[12:13] offset:1344
	v_add_u32_e32 v4, 0x400, v30
	ds_read2_b32 v[4:5], v4 offset0:80 offset1:192
	v_mad_u64_u32 v[2:3], s[0:1], s8, v7, v[2:3]
	v_add_u32_e32 v3, s11, v3
	s_waitcnt lgkmcnt(0)
	v_lshrrev_b32_e32 v9, 16, v4
	s_waitcnt vmcnt(0)
	v_mul_f16_sdwa v10, v9, v8 dst_sel:DWORD dst_unused:UNUSED_PAD src0_sel:DWORD src1_sel:WORD_1
	v_mul_f16_sdwa v11, v4, v8 dst_sel:DWORD dst_unused:UNUSED_PAD src0_sel:DWORD src1_sel:WORD_1
	v_fma_f16 v4, v4, v8, v10
	v_fma_f16 v8, v8, v9, -v11
	v_cvt_f32_f16_e32 v4, v4
	v_cvt_f32_f16_e32 v10, v8
	v_cvt_f64_f32_e32 v[8:9], v4
	v_cvt_f64_f32_e32 v[10:11], v10
	v_mul_f64 v[8:9], v[8:9], s[6:7]
	v_mul_f64 v[10:11], v[10:11], s[6:7]
	v_and_or_b32 v4, v9, s16, v8
	v_and_or_b32 v10, v11, s16, v10
	v_cmp_ne_u32_e32 vcc, 0, v4
	v_lshrrev_b32_e32 v8, 8, v9
	v_bfe_u32 v12, v9, 20, 11
	v_cndmask_b32_e64 v4, 0, 1, vcc
	v_cmp_ne_u32_e32 vcc, 0, v10
	v_lshrrev_b32_e32 v13, 8, v11
	v_bfe_u32 v14, v11, 20, 11
	v_sub_u32_e32 v15, 0x3f1, v12
	v_cndmask_b32_e64 v10, 0, 1, vcc
	v_and_or_b32 v4, v8, s15, v4
	v_sub_u32_e32 v16, 0x3f1, v14
	v_med3_i32 v8, v15, 0, 13
	v_and_or_b32 v10, v13, s15, v10
	v_or_b32_e32 v15, 0x1000, v4
	v_add_u32_e32 v12, 0xfffffc10, v12
	v_med3_i32 v13, v16, 0, 13
	v_cmp_ne_u32_e32 vcc, 0, v4
	v_or_b32_e32 v17, 0x1000, v10
	v_lshrrev_b32_e32 v19, v8, v15
	v_add_u32_e32 v14, 0xfffffc10, v14
	v_lshl_or_b32 v16, v12, 12, v4
	v_cndmask_b32_e64 v4, 0, 1, vcc
	v_cmp_ne_u32_e32 vcc, 0, v10
	v_lshrrev_b32_e32 v20, v13, v17
	v_lshlrev_b32_e32 v8, v8, v19
	v_lshl_or_b32 v18, v14, 12, v10
	v_cndmask_b32_e64 v10, 0, 1, vcc
	v_lshlrev_b32_e32 v13, v13, v20
	v_cmp_ne_u32_e32 vcc, v8, v15
	v_lshl_or_b32 v4, v4, 9, v6
	v_lshl_or_b32 v10, v10, 9, v6
	v_cndmask_b32_e64 v8, 0, 1, vcc
	v_cmp_ne_u32_e32 vcc, v13, v17
	v_or_b32_e32 v8, v19, v8
	v_and_b32_sdwa v9, v9, s14 dst_sel:DWORD dst_unused:UNUSED_PAD src0_sel:WORD_1 src1_sel:DWORD
	v_cndmask_b32_e64 v13, 0, 1, vcc
	v_cmp_gt_i32_e32 vcc, 1, v12
	v_or_b32_e32 v13, v20, v13
	v_lshrrev_b32_e32 v11, 16, v11
	v_cndmask_b32_e32 v8, v16, v8, vcc
	v_cmp_gt_i32_e32 vcc, 1, v14
	v_and_b32_e32 v15, 7, v8
	v_cmp_eq_u32_e64 s[0:1], 3, v15
	v_cndmask_b32_e32 v13, v18, v13, vcc
	v_cmp_lt_i32_e32 vcc, 5, v15
	v_lshrrev_b32_e32 v8, 2, v8
	v_and_b32_e32 v16, 7, v13
	s_or_b64 vcc, s[0:1], vcc
	v_cmp_lt_i32_e64 s[2:3], 5, v16
	v_cmp_eq_u32_e64 s[4:5], 3, v16
	v_addc_co_u32_e32 v8, vcc, 0, v8, vcc
	v_lshrrev_b32_e32 v13, 2, v13
	s_or_b64 vcc, s[4:5], s[2:3]
	v_addc_co_u32_e32 v13, vcc, 0, v13, vcc
	v_cmp_gt_i32_e32 vcc, 31, v12
	s_nop 1
	v_cndmask_b32_e32 v8, v6, v8, vcc
	v_cmp_gt_i32_e32 vcc, 31, v14
	s_nop 1
	v_cndmask_b32_e32 v13, v6, v13, vcc
	v_cmp_eq_u32_e32 vcc, s10, v12
	s_nop 1
	v_cndmask_b32_e32 v4, v8, v4, vcc
	v_cmp_eq_u32_e32 vcc, s10, v14
	v_bitop3_b32 v4, v9, s17, v4 bitop3:0xc8
	s_nop 0
	v_cndmask_b32_e32 v8, v13, v10, vcc
	v_and_or_b32 v8, v11, s14, v8
	v_lshl_or_b32 v4, v8, 16, v4
	global_store_dword v[2:3], v4, off
	global_load_dword v4, v30, s[12:13] offset:1792
	v_lshrrev_b32_e32 v8, 16, v5
	v_mad_u64_u32 v[2:3], s[0:1], s8, v7, v[2:3]
	v_add_u32_e32 v3, s11, v3
	s_waitcnt vmcnt(0)
	v_mul_f16_sdwa v9, v8, v4 dst_sel:DWORD dst_unused:UNUSED_PAD src0_sel:DWORD src1_sel:WORD_1
	v_mul_f16_sdwa v10, v5, v4 dst_sel:DWORD dst_unused:UNUSED_PAD src0_sel:DWORD src1_sel:WORD_1
	v_fma_f16 v5, v5, v4, v9
	v_fma_f16 v4, v4, v8, -v10
	v_cvt_f32_f16_e32 v5, v5
	v_cvt_f32_f16_e32 v8, v4
	v_cvt_f64_f32_e32 v[4:5], v5
	v_cvt_f64_f32_e32 v[8:9], v8
	v_mul_f64 v[4:5], v[4:5], s[6:7]
	v_mul_f64 v[8:9], v[8:9], s[6:7]
	v_and_or_b32 v4, v5, s16, v4
	v_and_or_b32 v8, v9, s16, v8
	v_cmp_ne_u32_e32 vcc, 0, v4
	v_lshrrev_b32_e32 v10, 8, v5
	v_bfe_u32 v11, v5, 20, 11
	v_cndmask_b32_e64 v4, 0, 1, vcc
	v_cmp_ne_u32_e32 vcc, 0, v8
	v_lshrrev_b32_e32 v12, 8, v9
	v_bfe_u32 v13, v9, 20, 11
	v_sub_u32_e32 v14, 0x3f1, v11
	v_cndmask_b32_e64 v8, 0, 1, vcc
	v_and_or_b32 v4, v10, s15, v4
	v_sub_u32_e32 v15, 0x3f1, v13
	v_med3_i32 v10, v14, 0, 13
	v_and_or_b32 v8, v12, s15, v8
	v_or_b32_e32 v14, 0x1000, v4
	v_add_u32_e32 v11, 0xfffffc10, v11
	v_med3_i32 v12, v15, 0, 13
	v_cmp_ne_u32_e32 vcc, 0, v4
	v_or_b32_e32 v16, 0x1000, v8
	v_lshrrev_b32_e32 v18, v10, v14
	v_add_u32_e32 v13, 0xfffffc10, v13
	v_lshl_or_b32 v15, v11, 12, v4
	v_cndmask_b32_e64 v4, 0, 1, vcc
	v_cmp_ne_u32_e32 vcc, 0, v8
	v_lshrrev_b32_e32 v19, v12, v16
	v_lshlrev_b32_e32 v10, v10, v18
	v_lshl_or_b32 v17, v13, 12, v8
	v_cndmask_b32_e64 v8, 0, 1, vcc
	v_lshlrev_b32_e32 v12, v12, v19
	v_cmp_ne_u32_e32 vcc, v10, v14
	v_lshl_or_b32 v4, v4, 9, v6
	v_lshl_or_b32 v8, v8, 9, v6
	v_cndmask_b32_e64 v10, 0, 1, vcc
	v_cmp_ne_u32_e32 vcc, v12, v16
	v_or_b32_e32 v10, v18, v10
	v_and_b32_sdwa v5, v5, s14 dst_sel:DWORD dst_unused:UNUSED_PAD src0_sel:WORD_1 src1_sel:DWORD
	v_cndmask_b32_e64 v12, 0, 1, vcc
	v_cmp_gt_i32_e32 vcc, 1, v11
	v_or_b32_e32 v12, v19, v12
	v_lshrrev_b32_e32 v9, 16, v9
	v_cndmask_b32_e32 v10, v15, v10, vcc
	v_cmp_gt_i32_e32 vcc, 1, v13
	v_and_b32_e32 v14, 7, v10
	v_cmp_eq_u32_e64 s[0:1], 3, v14
	v_cndmask_b32_e32 v12, v17, v12, vcc
	v_cmp_lt_i32_e32 vcc, 5, v14
	v_lshrrev_b32_e32 v10, 2, v10
	v_and_b32_e32 v15, 7, v12
	s_or_b64 vcc, s[0:1], vcc
	v_cmp_lt_i32_e64 s[2:3], 5, v15
	v_cmp_eq_u32_e64 s[4:5], 3, v15
	v_addc_co_u32_e32 v10, vcc, 0, v10, vcc
	v_lshrrev_b32_e32 v12, 2, v12
	s_or_b64 vcc, s[4:5], s[2:3]
	v_addc_co_u32_e32 v12, vcc, 0, v12, vcc
	v_cmp_gt_i32_e32 vcc, 31, v11
	s_nop 1
	v_cndmask_b32_e32 v10, v6, v10, vcc
	v_cmp_gt_i32_e32 vcc, 31, v13
	s_nop 1
	v_cndmask_b32_e32 v12, v6, v12, vcc
	v_cmp_eq_u32_e32 vcc, s10, v11
	s_nop 1
	v_cndmask_b32_e32 v4, v10, v4, vcc
	v_cmp_eq_u32_e32 vcc, s10, v13
	v_bitop3_b32 v4, v5, s17, v4 bitop3:0xc8
	s_nop 0
	v_cndmask_b32_e32 v8, v12, v8, vcc
	v_and_or_b32 v8, v9, s14, v8
	v_lshl_or_b32 v4, v8, 16, v4
	global_store_dword v[2:3], v4, off
	global_load_dword v8, v30, s[12:13] offset:2240
	v_add_u32_e32 v4, 0x800, v30
	ds_read2_b32 v[4:5], v4 offset0:48 offset1:160
	v_mad_u64_u32 v[2:3], s[0:1], s8, v7, v[2:3]
	v_add_u32_e32 v3, s11, v3
	s_waitcnt lgkmcnt(0)
	v_lshrrev_b32_e32 v9, 16, v4
	s_waitcnt vmcnt(0)
	v_mul_f16_sdwa v10, v9, v8 dst_sel:DWORD dst_unused:UNUSED_PAD src0_sel:DWORD src1_sel:WORD_1
	v_mul_f16_sdwa v11, v4, v8 dst_sel:DWORD dst_unused:UNUSED_PAD src0_sel:DWORD src1_sel:WORD_1
	v_fma_f16 v4, v4, v8, v10
	v_fma_f16 v8, v8, v9, -v11
	v_cvt_f32_f16_e32 v4, v4
	v_cvt_f32_f16_e32 v10, v8
	v_cvt_f64_f32_e32 v[8:9], v4
	v_cvt_f64_f32_e32 v[10:11], v10
	v_mul_f64 v[8:9], v[8:9], s[6:7]
	v_mul_f64 v[10:11], v[10:11], s[6:7]
	v_and_or_b32 v4, v9, s16, v8
	v_and_or_b32 v10, v11, s16, v10
	v_cmp_ne_u32_e32 vcc, 0, v4
	v_lshrrev_b32_e32 v8, 8, v9
	v_bfe_u32 v12, v9, 20, 11
	v_cndmask_b32_e64 v4, 0, 1, vcc
	v_cmp_ne_u32_e32 vcc, 0, v10
	v_lshrrev_b32_e32 v13, 8, v11
	v_bfe_u32 v14, v11, 20, 11
	v_sub_u32_e32 v15, 0x3f1, v12
	v_cndmask_b32_e64 v10, 0, 1, vcc
	v_and_or_b32 v4, v8, s15, v4
	v_sub_u32_e32 v16, 0x3f1, v14
	v_med3_i32 v8, v15, 0, 13
	v_and_or_b32 v10, v13, s15, v10
	v_or_b32_e32 v15, 0x1000, v4
	v_add_u32_e32 v12, 0xfffffc10, v12
	v_med3_i32 v13, v16, 0, 13
	v_cmp_ne_u32_e32 vcc, 0, v4
	v_or_b32_e32 v17, 0x1000, v10
	v_lshrrev_b32_e32 v19, v8, v15
	v_add_u32_e32 v14, 0xfffffc10, v14
	v_lshl_or_b32 v16, v12, 12, v4
	v_cndmask_b32_e64 v4, 0, 1, vcc
	v_cmp_ne_u32_e32 vcc, 0, v10
	v_lshrrev_b32_e32 v20, v13, v17
	v_lshlrev_b32_e32 v8, v8, v19
	v_lshl_or_b32 v18, v14, 12, v10
	v_cndmask_b32_e64 v10, 0, 1, vcc
	v_lshlrev_b32_e32 v13, v13, v20
	v_cmp_ne_u32_e32 vcc, v8, v15
	v_lshl_or_b32 v4, v4, 9, v6
	v_lshl_or_b32 v10, v10, 9, v6
	v_cndmask_b32_e64 v8, 0, 1, vcc
	v_cmp_ne_u32_e32 vcc, v13, v17
	v_or_b32_e32 v8, v19, v8
	v_and_b32_sdwa v9, v9, s14 dst_sel:DWORD dst_unused:UNUSED_PAD src0_sel:WORD_1 src1_sel:DWORD
	v_cndmask_b32_e64 v13, 0, 1, vcc
	v_cmp_gt_i32_e32 vcc, 1, v12
	v_or_b32_e32 v13, v20, v13
	v_lshrrev_b32_e32 v11, 16, v11
	v_cndmask_b32_e32 v8, v16, v8, vcc
	v_cmp_gt_i32_e32 vcc, 1, v14
	v_and_b32_e32 v15, 7, v8
	v_cmp_eq_u32_e64 s[0:1], 3, v15
	v_cndmask_b32_e32 v13, v18, v13, vcc
	v_cmp_lt_i32_e32 vcc, 5, v15
	v_lshrrev_b32_e32 v8, 2, v8
	v_and_b32_e32 v16, 7, v13
	s_or_b64 vcc, s[0:1], vcc
	v_cmp_lt_i32_e64 s[2:3], 5, v16
	v_cmp_eq_u32_e64 s[4:5], 3, v16
	v_addc_co_u32_e32 v8, vcc, 0, v8, vcc
	v_lshrrev_b32_e32 v13, 2, v13
	s_or_b64 vcc, s[4:5], s[2:3]
	v_addc_co_u32_e32 v13, vcc, 0, v13, vcc
	v_cmp_gt_i32_e32 vcc, 31, v12
	s_nop 1
	v_cndmask_b32_e32 v8, v6, v8, vcc
	v_cmp_gt_i32_e32 vcc, 31, v14
	s_nop 1
	v_cndmask_b32_e32 v13, v6, v13, vcc
	v_cmp_eq_u32_e32 vcc, s10, v12
	s_nop 1
	v_cndmask_b32_e32 v4, v8, v4, vcc
	v_cmp_eq_u32_e32 vcc, s10, v14
	v_bitop3_b32 v4, v9, s17, v4 bitop3:0xc8
	s_nop 0
	v_cndmask_b32_e32 v8, v13, v10, vcc
	v_and_or_b32 v8, v11, s14, v8
	v_lshl_or_b32 v4, v8, 16, v4
	global_store_dword v[2:3], v4, off
	global_load_dword v4, v30, s[12:13] offset:2688
	v_lshrrev_b32_e32 v8, 16, v5
	v_mad_u64_u32 v[2:3], s[0:1], s8, v7, v[2:3]
	v_add_u32_e32 v3, s11, v3
	s_waitcnt vmcnt(0)
	v_mul_f16_sdwa v9, v8, v4 dst_sel:DWORD dst_unused:UNUSED_PAD src0_sel:DWORD src1_sel:WORD_1
	v_mul_f16_sdwa v10, v5, v4 dst_sel:DWORD dst_unused:UNUSED_PAD src0_sel:DWORD src1_sel:WORD_1
	v_fma_f16 v5, v5, v4, v9
	v_fma_f16 v4, v4, v8, -v10
	v_cvt_f32_f16_e32 v5, v5
	v_cvt_f32_f16_e32 v8, v4
	v_cvt_f64_f32_e32 v[4:5], v5
	v_cvt_f64_f32_e32 v[8:9], v8
	v_mul_f64 v[4:5], v[4:5], s[6:7]
	v_mul_f64 v[8:9], v[8:9], s[6:7]
	v_and_or_b32 v4, v5, s16, v4
	v_and_or_b32 v8, v9, s16, v8
	v_cmp_ne_u32_e32 vcc, 0, v4
	v_lshrrev_b32_e32 v10, 8, v5
	v_bfe_u32 v11, v5, 20, 11
	v_cndmask_b32_e64 v4, 0, 1, vcc
	v_cmp_ne_u32_e32 vcc, 0, v8
	v_lshrrev_b32_e32 v12, 8, v9
	v_bfe_u32 v13, v9, 20, 11
	v_sub_u32_e32 v14, 0x3f1, v11
	v_cndmask_b32_e64 v8, 0, 1, vcc
	v_and_or_b32 v4, v10, s15, v4
	v_sub_u32_e32 v15, 0x3f1, v13
	v_med3_i32 v10, v14, 0, 13
	v_and_or_b32 v8, v12, s15, v8
	v_or_b32_e32 v14, 0x1000, v4
	v_add_u32_e32 v11, 0xfffffc10, v11
	v_med3_i32 v12, v15, 0, 13
	v_cmp_ne_u32_e32 vcc, 0, v4
	v_or_b32_e32 v16, 0x1000, v8
	v_lshrrev_b32_e32 v18, v10, v14
	v_add_u32_e32 v13, 0xfffffc10, v13
	v_lshl_or_b32 v15, v11, 12, v4
	v_cndmask_b32_e64 v4, 0, 1, vcc
	v_cmp_ne_u32_e32 vcc, 0, v8
	v_lshrrev_b32_e32 v19, v12, v16
	v_lshlrev_b32_e32 v10, v10, v18
	v_lshl_or_b32 v17, v13, 12, v8
	v_cndmask_b32_e64 v8, 0, 1, vcc
	v_lshlrev_b32_e32 v12, v12, v19
	v_cmp_ne_u32_e32 vcc, v10, v14
	v_lshl_or_b32 v4, v4, 9, v6
	v_lshl_or_b32 v8, v8, 9, v6
	v_cndmask_b32_e64 v10, 0, 1, vcc
	v_cmp_ne_u32_e32 vcc, v12, v16
	v_or_b32_e32 v10, v18, v10
	v_and_b32_sdwa v5, v5, s14 dst_sel:DWORD dst_unused:UNUSED_PAD src0_sel:WORD_1 src1_sel:DWORD
	v_cndmask_b32_e64 v12, 0, 1, vcc
	v_cmp_gt_i32_e32 vcc, 1, v11
	v_or_b32_e32 v12, v19, v12
	v_lshrrev_b32_e32 v9, 16, v9
	v_cndmask_b32_e32 v10, v15, v10, vcc
	v_cmp_gt_i32_e32 vcc, 1, v13
	v_and_b32_e32 v14, 7, v10
	v_cmp_eq_u32_e64 s[0:1], 3, v14
	v_cndmask_b32_e32 v12, v17, v12, vcc
	v_cmp_lt_i32_e32 vcc, 5, v14
	v_lshrrev_b32_e32 v10, 2, v10
	v_and_b32_e32 v15, 7, v12
	s_or_b64 vcc, s[0:1], vcc
	v_cmp_lt_i32_e64 s[2:3], 5, v15
	v_cmp_eq_u32_e64 s[4:5], 3, v15
	v_addc_co_u32_e32 v10, vcc, 0, v10, vcc
	v_lshrrev_b32_e32 v12, 2, v12
	s_or_b64 vcc, s[4:5], s[2:3]
	v_addc_co_u32_e32 v12, vcc, 0, v12, vcc
	v_cmp_gt_i32_e32 vcc, 31, v11
	s_nop 1
	v_cndmask_b32_e32 v10, v6, v10, vcc
	v_cmp_gt_i32_e32 vcc, 31, v13
	s_nop 1
	v_cndmask_b32_e32 v12, v6, v12, vcc
	v_cmp_eq_u32_e32 vcc, s10, v11
	s_nop 1
	v_cndmask_b32_e32 v4, v10, v4, vcc
	v_cmp_eq_u32_e32 vcc, s10, v13
	v_bitop3_b32 v4, v5, s17, v4 bitop3:0xc8
	v_add_u32_e32 v5, 0xc00, v30
	v_cndmask_b32_e32 v8, v12, v8, vcc
	v_and_or_b32 v8, v9, s14, v8
	v_lshl_or_b32 v4, v8, 16, v4
	global_store_dword v[2:3], v4, off
	global_load_dword v4, v30, s[12:13] offset:3136
	ds_read2_b32 v[8:9], v5 offset0:16 offset1:128
	s_waitcnt lgkmcnt(0)
	v_lshrrev_b32_e32 v5, 16, v8
	s_waitcnt vmcnt(0)
	v_mul_f16_sdwa v10, v5, v4 dst_sel:DWORD dst_unused:UNUSED_PAD src0_sel:DWORD src1_sel:WORD_1
	v_mul_f16_sdwa v11, v8, v4 dst_sel:DWORD dst_unused:UNUSED_PAD src0_sel:DWORD src1_sel:WORD_1
	v_fma_f16 v8, v8, v4, v10
	v_fma_f16 v4, v4, v5, -v11
	v_cvt_f32_f16_e32 v8, v8
	v_cvt_f32_f16_e32 v10, v4
	v_mad_u64_u32 v[4:5], s[0:1], s8, v7, v[2:3]
	v_cvt_f64_f32_e32 v[2:3], v8
	v_cvt_f64_f32_e32 v[10:11], v10
	v_mul_f64 v[2:3], v[2:3], s[6:7]
	v_mul_f64 v[10:11], v[10:11], s[6:7]
	v_and_or_b32 v2, v3, s16, v2
	v_and_or_b32 v10, v11, s16, v10
	v_cmp_ne_u32_e32 vcc, 0, v2
	v_lshrrev_b32_e32 v8, 8, v3
	v_bfe_u32 v12, v3, 20, 11
	v_cndmask_b32_e64 v2, 0, 1, vcc
	v_cmp_ne_u32_e32 vcc, 0, v10
	v_lshrrev_b32_e32 v13, 8, v11
	v_bfe_u32 v14, v11, 20, 11
	v_sub_u32_e32 v15, 0x3f1, v12
	v_cndmask_b32_e64 v10, 0, 1, vcc
	v_and_or_b32 v2, v8, s15, v2
	v_sub_u32_e32 v16, 0x3f1, v14
	v_med3_i32 v8, v15, 0, 13
	v_and_or_b32 v10, v13, s15, v10
	v_or_b32_e32 v15, 0x1000, v2
	v_add_u32_e32 v12, 0xfffffc10, v12
	v_med3_i32 v13, v16, 0, 13
	v_cmp_ne_u32_e32 vcc, 0, v2
	v_or_b32_e32 v17, 0x1000, v10
	v_lshrrev_b32_e32 v19, v8, v15
	v_add_u32_e32 v14, 0xfffffc10, v14
	v_lshl_or_b32 v16, v12, 12, v2
	v_cndmask_b32_e64 v2, 0, 1, vcc
	v_cmp_ne_u32_e32 vcc, 0, v10
	v_lshrrev_b32_e32 v20, v13, v17
	v_lshlrev_b32_e32 v8, v8, v19
	v_lshl_or_b32 v18, v14, 12, v10
	v_cndmask_b32_e64 v10, 0, 1, vcc
	v_lshlrev_b32_e32 v13, v13, v20
	v_cmp_ne_u32_e32 vcc, v8, v15
	v_lshl_or_b32 v2, v2, 9, v6
	v_lshl_or_b32 v10, v10, 9, v6
	v_cndmask_b32_e64 v8, 0, 1, vcc
	v_cmp_ne_u32_e32 vcc, v13, v17
	v_or_b32_e32 v8, v19, v8
	v_and_b32_sdwa v3, v3, s14 dst_sel:DWORD dst_unused:UNUSED_PAD src0_sel:WORD_1 src1_sel:DWORD
	v_cndmask_b32_e64 v13, 0, 1, vcc
	v_cmp_gt_i32_e32 vcc, 1, v12
	v_or_b32_e32 v13, v20, v13
	v_lshrrev_b32_e32 v11, 16, v11
	v_cndmask_b32_e32 v8, v16, v8, vcc
	v_cmp_gt_i32_e32 vcc, 1, v14
	v_and_b32_e32 v15, 7, v8
	v_cmp_eq_u32_e64 s[0:1], 3, v15
	v_cndmask_b32_e32 v13, v18, v13, vcc
	v_cmp_lt_i32_e32 vcc, 5, v15
	v_lshrrev_b32_e32 v8, 2, v8
	v_and_b32_e32 v16, 7, v13
	s_or_b64 vcc, s[0:1], vcc
	v_cmp_lt_i32_e64 s[2:3], 5, v16
	v_cmp_eq_u32_e64 s[4:5], 3, v16
	v_addc_co_u32_e32 v8, vcc, 0, v8, vcc
	v_lshrrev_b32_e32 v13, 2, v13
	s_or_b64 vcc, s[4:5], s[2:3]
	v_addc_co_u32_e32 v13, vcc, 0, v13, vcc
	v_cmp_gt_i32_e32 vcc, 31, v12
	v_add_u32_e32 v5, s11, v5
	s_nop 0
	v_cndmask_b32_e32 v8, v6, v8, vcc
	v_cmp_gt_i32_e32 vcc, 31, v14
	s_nop 1
	v_cndmask_b32_e32 v13, v6, v13, vcc
	v_cmp_eq_u32_e32 vcc, s10, v12
	s_nop 1
	v_cndmask_b32_e32 v2, v8, v2, vcc
	v_cmp_eq_u32_e32 vcc, s10, v14
	v_bitop3_b32 v2, v3, s17, v2 bitop3:0xc8
	s_nop 0
	v_cndmask_b32_e32 v8, v13, v10, vcc
	v_and_or_b32 v8, v11, s14, v8
	v_lshl_or_b32 v2, v8, 16, v2
	global_store_dword v[4:5], v2, off
	global_load_dword v12, v30, s[12:13] offset:3584
	v_or_b32_e32 v10, 0x380, v28
	v_mad_u64_u32 v[2:3], s[0:1], s8, v10, 0
	v_mov_b32_e32 v8, v3
	v_lshrrev_b32_e32 v3, 16, v9
	v_mad_u64_u32 v[10:11], s[0:1], s9, v10, v[8:9]
	s_waitcnt vmcnt(0)
	v_mul_f16_sdwa v8, v3, v12 dst_sel:DWORD dst_unused:UNUSED_PAD src0_sel:DWORD src1_sel:WORD_1
	v_mul_f16_sdwa v11, v9, v12 dst_sel:DWORD dst_unused:UNUSED_PAD src0_sel:DWORD src1_sel:WORD_1
	v_fma_f16 v8, v9, v12, v8
	v_fma_f16 v3, v12, v3, -v11
	v_cvt_f32_f16_e32 v8, v8
	v_cvt_f32_f16_e32 v11, v3
	v_mov_b32_e32 v3, v10
	v_lshl_add_u64 v[2:3], v[2:3], 2, v[0:1]
	v_cvt_f64_f32_e32 v[8:9], v8
	v_cvt_f64_f32_e32 v[10:11], v11
	v_mul_f64 v[8:9], v[8:9], s[6:7]
	v_mul_f64 v[10:11], v[10:11], s[6:7]
	v_and_or_b32 v8, v9, s16, v8
	v_and_or_b32 v10, v11, s16, v10
	v_cmp_ne_u32_e32 vcc, 0, v8
	v_lshrrev_b32_e32 v12, 8, v9
	v_bfe_u32 v13, v9, 20, 11
	v_cndmask_b32_e64 v8, 0, 1, vcc
	v_cmp_ne_u32_e32 vcc, 0, v10
	v_lshrrev_b32_e32 v14, 8, v11
	v_bfe_u32 v15, v11, 20, 11
	v_sub_u32_e32 v16, 0x3f1, v13
	v_cndmask_b32_e64 v10, 0, 1, vcc
	v_and_or_b32 v8, v12, s15, v8
	v_sub_u32_e32 v17, 0x3f1, v15
	v_med3_i32 v12, v16, 0, 13
	v_and_or_b32 v10, v14, s15, v10
	v_or_b32_e32 v16, 0x1000, v8
	v_add_u32_e32 v13, 0xfffffc10, v13
	v_med3_i32 v14, v17, 0, 13
	v_cmp_ne_u32_e32 vcc, 0, v8
	v_or_b32_e32 v18, 0x1000, v10
	v_lshrrev_b32_e32 v20, v12, v16
	v_add_u32_e32 v15, 0xfffffc10, v15
	v_lshl_or_b32 v17, v13, 12, v8
	v_cndmask_b32_e64 v8, 0, 1, vcc
	v_cmp_ne_u32_e32 vcc, 0, v10
	v_lshrrev_b32_e32 v21, v14, v18
	v_lshlrev_b32_e32 v12, v12, v20
	v_lshl_or_b32 v19, v15, 12, v10
	v_cndmask_b32_e64 v10, 0, 1, vcc
	v_lshlrev_b32_e32 v14, v14, v21
	v_cmp_ne_u32_e32 vcc, v12, v16
	v_lshl_or_b32 v8, v8, 9, v6
	v_lshl_or_b32 v10, v10, 9, v6
	v_cndmask_b32_e64 v12, 0, 1, vcc
	v_cmp_ne_u32_e32 vcc, v14, v18
	v_or_b32_e32 v12, v20, v12
	v_and_b32_sdwa v9, v9, s14 dst_sel:DWORD dst_unused:UNUSED_PAD src0_sel:WORD_1 src1_sel:DWORD
	v_cndmask_b32_e64 v14, 0, 1, vcc
	v_cmp_gt_i32_e32 vcc, 1, v13
	v_or_b32_e32 v14, v21, v14
	v_lshrrev_b32_e32 v11, 16, v11
	v_cndmask_b32_e32 v12, v17, v12, vcc
	v_cmp_gt_i32_e32 vcc, 1, v15
	v_and_b32_e32 v16, 7, v12
	v_cmp_eq_u32_e64 s[0:1], 3, v16
	v_cndmask_b32_e32 v14, v19, v14, vcc
	v_cmp_lt_i32_e32 vcc, 5, v16
	v_lshrrev_b32_e32 v12, 2, v12
	v_and_b32_e32 v17, 7, v14
	s_or_b64 vcc, s[0:1], vcc
	v_cmp_lt_i32_e64 s[2:3], 5, v17
	v_cmp_eq_u32_e64 s[4:5], 3, v17
	v_addc_co_u32_e32 v12, vcc, 0, v12, vcc
	v_lshrrev_b32_e32 v14, 2, v14
	s_or_b64 vcc, s[4:5], s[2:3]
	v_addc_co_u32_e32 v14, vcc, 0, v14, vcc
	v_cmp_gt_i32_e32 vcc, 31, v13
	s_movk_i32 s0, 0x1000
	s_mul_i32 s2, s9, 0x380
	v_cndmask_b32_e32 v12, v6, v12, vcc
	v_cmp_gt_i32_e32 vcc, 31, v15
	s_nop 1
	v_cndmask_b32_e32 v14, v6, v14, vcc
	v_cmp_eq_u32_e32 vcc, s10, v13
	s_nop 1
	v_cndmask_b32_e32 v8, v12, v8, vcc
	v_cmp_eq_u32_e32 vcc, s10, v15
	v_bitop3_b32 v8, v9, s17, v8 bitop3:0xc8
	s_nop 0
	v_cndmask_b32_e32 v10, v14, v10, vcc
	v_and_or_b32 v10, v11, s14, v10
	v_lshl_or_b32 v8, v10, 16, v8
	global_store_dword v[2:3], v8, off
	global_load_dword v10, v30, s[12:13] offset:4032
	v_add_u32_e32 v8, 0xe00, v30
	ds_read2_b32 v[8:9], v8 offset0:112 offset1:224
	v_mov_b32_e32 v11, 0x380
	v_lshl_add_u64 v[2:3], s[12:13], 0, v[30:31]
	v_add_co_u32_e32 v2, vcc, s0, v2
	s_waitcnt lgkmcnt(0)
	v_lshrrev_b32_e32 v12, 16, v8
	v_mad_u64_u32 v[4:5], s[0:1], s8, v11, v[4:5]
	v_addc_co_u32_e32 v3, vcc, 0, v3, vcc
	v_add_u32_e32 v5, s2, v5
	s_waitcnt vmcnt(0)
	v_mul_f16_sdwa v13, v12, v10 dst_sel:DWORD dst_unused:UNUSED_PAD src0_sel:DWORD src1_sel:WORD_1
	v_mul_f16_sdwa v14, v8, v10 dst_sel:DWORD dst_unused:UNUSED_PAD src0_sel:DWORD src1_sel:WORD_1
	v_fma_f16 v8, v8, v10, v13
	v_fma_f16 v10, v10, v12, -v14
	v_cvt_f32_f16_e32 v8, v8
	v_cvt_f32_f16_e32 v12, v10
	v_cvt_f64_f32_e32 v[10:11], v8
	v_cvt_f64_f32_e32 v[12:13], v12
	v_mul_f64 v[10:11], v[10:11], s[6:7]
	v_mul_f64 v[12:13], v[12:13], s[6:7]
	v_and_or_b32 v8, v11, s16, v10
	v_and_or_b32 v12, v13, s16, v12
	v_cmp_ne_u32_e32 vcc, 0, v8
	v_lshrrev_b32_e32 v10, 8, v11
	v_bfe_u32 v14, v11, 20, 11
	v_cndmask_b32_e64 v8, 0, 1, vcc
	v_cmp_ne_u32_e32 vcc, 0, v12
	v_lshrrev_b32_e32 v15, 8, v13
	v_bfe_u32 v16, v13, 20, 11
	v_sub_u32_e32 v17, 0x3f1, v14
	v_cndmask_b32_e64 v12, 0, 1, vcc
	v_and_or_b32 v8, v10, s15, v8
	v_sub_u32_e32 v18, 0x3f1, v16
	v_med3_i32 v10, v17, 0, 13
	v_and_or_b32 v12, v15, s15, v12
	v_or_b32_e32 v17, 0x1000, v8
	v_add_u32_e32 v14, 0xfffffc10, v14
	v_med3_i32 v15, v18, 0, 13
	v_cmp_ne_u32_e32 vcc, 0, v8
	v_or_b32_e32 v19, 0x1000, v12
	v_lshrrev_b32_e32 v21, v10, v17
	v_add_u32_e32 v16, 0xfffffc10, v16
	v_lshl_or_b32 v18, v14, 12, v8
	v_cndmask_b32_e64 v8, 0, 1, vcc
	v_cmp_ne_u32_e32 vcc, 0, v12
	v_lshrrev_b32_e32 v22, v15, v19
	v_lshlrev_b32_e32 v10, v10, v21
	v_lshl_or_b32 v20, v16, 12, v12
	v_cndmask_b32_e64 v12, 0, 1, vcc
	v_lshlrev_b32_e32 v15, v15, v22
	v_cmp_ne_u32_e32 vcc, v10, v17
	v_lshl_or_b32 v8, v8, 9, v6
	v_lshl_or_b32 v12, v12, 9, v6
	v_cndmask_b32_e64 v10, 0, 1, vcc
	v_cmp_ne_u32_e32 vcc, v15, v19
	v_or_b32_e32 v10, v21, v10
	v_and_b32_sdwa v11, v11, s14 dst_sel:DWORD dst_unused:UNUSED_PAD src0_sel:WORD_1 src1_sel:DWORD
	v_cndmask_b32_e64 v15, 0, 1, vcc
	v_cmp_gt_i32_e32 vcc, 1, v14
	v_or_b32_e32 v15, v22, v15
	v_lshrrev_b32_e32 v13, 16, v13
	v_cndmask_b32_e32 v10, v18, v10, vcc
	v_cmp_gt_i32_e32 vcc, 1, v16
	v_and_b32_e32 v17, 7, v10
	v_cmp_eq_u32_e64 s[0:1], 3, v17
	v_cndmask_b32_e32 v15, v20, v15, vcc
	v_cmp_lt_i32_e32 vcc, 5, v17
	v_lshrrev_b32_e32 v10, 2, v10
	v_and_b32_e32 v18, 7, v15
	s_or_b64 vcc, s[0:1], vcc
	v_cmp_lt_i32_e64 s[2:3], 5, v18
	v_cmp_eq_u32_e64 s[4:5], 3, v18
	v_addc_co_u32_e32 v10, vcc, 0, v10, vcc
	v_lshrrev_b32_e32 v15, 2, v15
	s_or_b64 vcc, s[4:5], s[2:3]
	v_addc_co_u32_e32 v15, vcc, 0, v15, vcc
	v_cmp_gt_i32_e32 vcc, 31, v14
	s_nop 1
	v_cndmask_b32_e32 v10, v6, v10, vcc
	v_cmp_gt_i32_e32 vcc, 31, v16
	s_nop 1
	v_cndmask_b32_e32 v15, v6, v15, vcc
	v_cmp_eq_u32_e32 vcc, s10, v14
	s_nop 1
	v_cndmask_b32_e32 v8, v10, v8, vcc
	v_cmp_eq_u32_e32 vcc, s10, v16
	v_bitop3_b32 v8, v11, s17, v8 bitop3:0xc8
	s_nop 0
	v_cndmask_b32_e32 v10, v15, v12, vcc
	v_and_or_b32 v10, v13, s14, v10
	v_lshl_or_b32 v8, v10, 16, v8
	global_store_dword v[4:5], v8, off
	global_load_dword v8, v[2:3], off offset:384
	v_lshrrev_b32_e32 v10, 16, v9
	v_mad_u64_u32 v[4:5], s[0:1], s8, v7, v[4:5]
	v_add_u32_e32 v5, s11, v5
	s_waitcnt vmcnt(0)
	v_mul_f16_sdwa v11, v10, v8 dst_sel:DWORD dst_unused:UNUSED_PAD src0_sel:DWORD src1_sel:WORD_1
	v_mul_f16_sdwa v12, v9, v8 dst_sel:DWORD dst_unused:UNUSED_PAD src0_sel:DWORD src1_sel:WORD_1
	v_fma_f16 v9, v9, v8, v11
	v_fma_f16 v8, v8, v10, -v12
	v_cvt_f32_f16_e32 v9, v9
	v_cvt_f32_f16_e32 v10, v8
	v_cvt_f64_f32_e32 v[8:9], v9
	v_cvt_f64_f32_e32 v[10:11], v10
	v_mul_f64 v[8:9], v[8:9], s[6:7]
	v_mul_f64 v[10:11], v[10:11], s[6:7]
	v_and_or_b32 v8, v9, s16, v8
	v_and_or_b32 v10, v11, s16, v10
	v_cmp_ne_u32_e32 vcc, 0, v8
	v_lshrrev_b32_e32 v12, 8, v9
	v_bfe_u32 v13, v9, 20, 11
	v_cndmask_b32_e64 v8, 0, 1, vcc
	v_cmp_ne_u32_e32 vcc, 0, v10
	v_lshrrev_b32_e32 v14, 8, v11
	v_bfe_u32 v15, v11, 20, 11
	v_sub_u32_e32 v16, 0x3f1, v13
	v_cndmask_b32_e64 v10, 0, 1, vcc
	v_and_or_b32 v8, v12, s15, v8
	v_sub_u32_e32 v17, 0x3f1, v15
	v_med3_i32 v12, v16, 0, 13
	v_and_or_b32 v10, v14, s15, v10
	v_or_b32_e32 v16, 0x1000, v8
	v_add_u32_e32 v13, 0xfffffc10, v13
	v_med3_i32 v14, v17, 0, 13
	v_cmp_ne_u32_e32 vcc, 0, v8
	v_or_b32_e32 v18, 0x1000, v10
	v_lshrrev_b32_e32 v20, v12, v16
	v_add_u32_e32 v15, 0xfffffc10, v15
	v_lshl_or_b32 v17, v13, 12, v8
	v_cndmask_b32_e64 v8, 0, 1, vcc
	v_cmp_ne_u32_e32 vcc, 0, v10
	v_lshrrev_b32_e32 v21, v14, v18
	v_lshlrev_b32_e32 v12, v12, v20
	v_lshl_or_b32 v19, v15, 12, v10
	v_cndmask_b32_e64 v10, 0, 1, vcc
	v_lshlrev_b32_e32 v14, v14, v21
	v_cmp_ne_u32_e32 vcc, v12, v16
	v_lshl_or_b32 v8, v8, 9, v6
	v_lshl_or_b32 v10, v10, 9, v6
	v_cndmask_b32_e64 v12, 0, 1, vcc
	v_cmp_ne_u32_e32 vcc, v14, v18
	v_or_b32_e32 v12, v20, v12
	v_and_b32_sdwa v9, v9, s14 dst_sel:DWORD dst_unused:UNUSED_PAD src0_sel:WORD_1 src1_sel:DWORD
	v_cndmask_b32_e64 v14, 0, 1, vcc
	v_cmp_gt_i32_e32 vcc, 1, v13
	v_or_b32_e32 v14, v21, v14
	v_lshrrev_b32_e32 v11, 16, v11
	v_cndmask_b32_e32 v12, v17, v12, vcc
	v_cmp_gt_i32_e32 vcc, 1, v15
	v_and_b32_e32 v16, 7, v12
	v_cmp_eq_u32_e64 s[0:1], 3, v16
	v_cndmask_b32_e32 v14, v19, v14, vcc
	v_cmp_lt_i32_e32 vcc, 5, v16
	v_lshrrev_b32_e32 v12, 2, v12
	v_and_b32_e32 v17, 7, v14
	s_or_b64 vcc, s[0:1], vcc
	v_cmp_lt_i32_e64 s[2:3], 5, v17
	v_cmp_eq_u32_e64 s[4:5], 3, v17
	v_addc_co_u32_e32 v12, vcc, 0, v12, vcc
	v_lshrrev_b32_e32 v14, 2, v14
	s_or_b64 vcc, s[4:5], s[2:3]
	v_addc_co_u32_e32 v14, vcc, 0, v14, vcc
	v_cmp_gt_i32_e32 vcc, 31, v13
	s_nop 1
	v_cndmask_b32_e32 v12, v6, v12, vcc
	v_cmp_gt_i32_e32 vcc, 31, v15
	s_nop 1
	v_cndmask_b32_e32 v14, v6, v14, vcc
	v_cmp_eq_u32_e32 vcc, s10, v13
	s_nop 1
	v_cndmask_b32_e32 v8, v12, v8, vcc
	v_cmp_eq_u32_e32 vcc, s10, v15
	v_bitop3_b32 v8, v9, s17, v8 bitop3:0xc8
	s_nop 0
	v_cndmask_b32_e32 v10, v14, v10, vcc
	v_and_or_b32 v10, v11, s14, v10
	v_lshl_or_b32 v8, v10, 16, v8
	global_store_dword v[4:5], v8, off
	global_load_dword v10, v[2:3], off offset:832
	v_add_u32_e32 v8, 0x1200, v30
	ds_read2_b32 v[8:9], v8 offset0:80 offset1:192
	v_mad_u64_u32 v[4:5], s[0:1], s8, v7, v[4:5]
	v_add_u32_e32 v5, s11, v5
	s_waitcnt lgkmcnt(0)
	v_lshrrev_b32_e32 v11, 16, v8
	s_waitcnt vmcnt(0)
	v_mul_f16_sdwa v12, v11, v10 dst_sel:DWORD dst_unused:UNUSED_PAD src0_sel:DWORD src1_sel:WORD_1
	v_mul_f16_sdwa v13, v8, v10 dst_sel:DWORD dst_unused:UNUSED_PAD src0_sel:DWORD src1_sel:WORD_1
	v_fma_f16 v8, v8, v10, v12
	v_fma_f16 v10, v10, v11, -v13
	v_cvt_f32_f16_e32 v8, v8
	v_cvt_f32_f16_e32 v12, v10
	v_cvt_f64_f32_e32 v[10:11], v8
	v_cvt_f64_f32_e32 v[12:13], v12
	v_mul_f64 v[10:11], v[10:11], s[6:7]
	v_mul_f64 v[12:13], v[12:13], s[6:7]
	v_and_or_b32 v8, v11, s16, v10
	v_and_or_b32 v12, v13, s16, v12
	v_cmp_ne_u32_e32 vcc, 0, v8
	v_lshrrev_b32_e32 v10, 8, v11
	v_bfe_u32 v14, v11, 20, 11
	v_cndmask_b32_e64 v8, 0, 1, vcc
	v_cmp_ne_u32_e32 vcc, 0, v12
	v_lshrrev_b32_e32 v15, 8, v13
	v_bfe_u32 v16, v13, 20, 11
	v_sub_u32_e32 v17, 0x3f1, v14
	v_cndmask_b32_e64 v12, 0, 1, vcc
	v_and_or_b32 v8, v10, s15, v8
	v_sub_u32_e32 v18, 0x3f1, v16
	v_med3_i32 v10, v17, 0, 13
	v_and_or_b32 v12, v15, s15, v12
	v_or_b32_e32 v17, 0x1000, v8
	v_add_u32_e32 v14, 0xfffffc10, v14
	v_med3_i32 v15, v18, 0, 13
	v_cmp_ne_u32_e32 vcc, 0, v8
	v_or_b32_e32 v19, 0x1000, v12
	v_lshrrev_b32_e32 v21, v10, v17
	v_add_u32_e32 v16, 0xfffffc10, v16
	v_lshl_or_b32 v18, v14, 12, v8
	v_cndmask_b32_e64 v8, 0, 1, vcc
	v_cmp_ne_u32_e32 vcc, 0, v12
	v_lshrrev_b32_e32 v22, v15, v19
	v_lshlrev_b32_e32 v10, v10, v21
	v_lshl_or_b32 v20, v16, 12, v12
	v_cndmask_b32_e64 v12, 0, 1, vcc
	v_lshlrev_b32_e32 v15, v15, v22
	v_cmp_ne_u32_e32 vcc, v10, v17
	v_lshl_or_b32 v8, v8, 9, v6
	v_lshl_or_b32 v12, v12, 9, v6
	v_cndmask_b32_e64 v10, 0, 1, vcc
	v_cmp_ne_u32_e32 vcc, v15, v19
	v_or_b32_e32 v10, v21, v10
	v_and_b32_sdwa v11, v11, s14 dst_sel:DWORD dst_unused:UNUSED_PAD src0_sel:WORD_1 src1_sel:DWORD
	v_cndmask_b32_e64 v15, 0, 1, vcc
	v_cmp_gt_i32_e32 vcc, 1, v14
	v_or_b32_e32 v15, v22, v15
	v_lshrrev_b32_e32 v13, 16, v13
	v_cndmask_b32_e32 v10, v18, v10, vcc
	v_cmp_gt_i32_e32 vcc, 1, v16
	v_and_b32_e32 v17, 7, v10
	v_cmp_eq_u32_e64 s[0:1], 3, v17
	v_cndmask_b32_e32 v15, v20, v15, vcc
	v_cmp_lt_i32_e32 vcc, 5, v17
	v_lshrrev_b32_e32 v10, 2, v10
	v_and_b32_e32 v18, 7, v15
	s_or_b64 vcc, s[0:1], vcc
	v_cmp_lt_i32_e64 s[2:3], 5, v18
	v_cmp_eq_u32_e64 s[4:5], 3, v18
	v_addc_co_u32_e32 v10, vcc, 0, v10, vcc
	v_lshrrev_b32_e32 v15, 2, v15
	s_or_b64 vcc, s[4:5], s[2:3]
	v_addc_co_u32_e32 v15, vcc, 0, v15, vcc
	v_cmp_gt_i32_e32 vcc, 31, v14
	s_nop 1
	v_cndmask_b32_e32 v10, v6, v10, vcc
	v_cmp_gt_i32_e32 vcc, 31, v16
	s_nop 1
	v_cndmask_b32_e32 v15, v6, v15, vcc
	v_cmp_eq_u32_e32 vcc, s10, v14
	s_nop 1
	v_cndmask_b32_e32 v8, v10, v8, vcc
	v_cmp_eq_u32_e32 vcc, s10, v16
	v_bitop3_b32 v8, v11, s17, v8 bitop3:0xc8
	s_nop 0
	v_cndmask_b32_e32 v10, v15, v12, vcc
	v_and_or_b32 v10, v13, s14, v10
	v_lshl_or_b32 v8, v10, 16, v8
	global_store_dword v[4:5], v8, off
	global_load_dword v8, v[2:3], off offset:1280
	v_lshrrev_b32_e32 v10, 16, v9
	v_mad_u64_u32 v[4:5], s[0:1], s8, v7, v[4:5]
	v_add_u32_e32 v5, s11, v5
	s_waitcnt vmcnt(0)
	v_mul_f16_sdwa v11, v10, v8 dst_sel:DWORD dst_unused:UNUSED_PAD src0_sel:DWORD src1_sel:WORD_1
	v_mul_f16_sdwa v12, v9, v8 dst_sel:DWORD dst_unused:UNUSED_PAD src0_sel:DWORD src1_sel:WORD_1
	v_fma_f16 v9, v9, v8, v11
	v_fma_f16 v8, v8, v10, -v12
	v_cvt_f32_f16_e32 v9, v9
	v_cvt_f32_f16_e32 v10, v8
	v_cvt_f64_f32_e32 v[8:9], v9
	v_cvt_f64_f32_e32 v[10:11], v10
	v_mul_f64 v[8:9], v[8:9], s[6:7]
	v_mul_f64 v[10:11], v[10:11], s[6:7]
	v_and_or_b32 v8, v9, s16, v8
	v_and_or_b32 v10, v11, s16, v10
	v_cmp_ne_u32_e32 vcc, 0, v8
	v_lshrrev_b32_e32 v12, 8, v9
	v_bfe_u32 v13, v9, 20, 11
	v_cndmask_b32_e64 v8, 0, 1, vcc
	v_cmp_ne_u32_e32 vcc, 0, v10
	v_lshrrev_b32_e32 v14, 8, v11
	v_bfe_u32 v15, v11, 20, 11
	v_sub_u32_e32 v16, 0x3f1, v13
	v_cndmask_b32_e64 v10, 0, 1, vcc
	v_and_or_b32 v8, v12, s15, v8
	v_sub_u32_e32 v17, 0x3f1, v15
	v_med3_i32 v12, v16, 0, 13
	v_and_or_b32 v10, v14, s15, v10
	v_or_b32_e32 v16, 0x1000, v8
	v_add_u32_e32 v13, 0xfffffc10, v13
	v_med3_i32 v14, v17, 0, 13
	v_cmp_ne_u32_e32 vcc, 0, v8
	v_or_b32_e32 v18, 0x1000, v10
	v_lshrrev_b32_e32 v20, v12, v16
	v_add_u32_e32 v15, 0xfffffc10, v15
	v_lshl_or_b32 v17, v13, 12, v8
	v_cndmask_b32_e64 v8, 0, 1, vcc
	v_cmp_ne_u32_e32 vcc, 0, v10
	v_lshrrev_b32_e32 v21, v14, v18
	v_lshlrev_b32_e32 v12, v12, v20
	v_lshl_or_b32 v19, v15, 12, v10
	v_cndmask_b32_e64 v10, 0, 1, vcc
	v_lshlrev_b32_e32 v14, v14, v21
	v_cmp_ne_u32_e32 vcc, v12, v16
	v_lshl_or_b32 v8, v8, 9, v6
	v_lshl_or_b32 v10, v10, 9, v6
	v_cndmask_b32_e64 v12, 0, 1, vcc
	v_cmp_ne_u32_e32 vcc, v14, v18
	v_or_b32_e32 v12, v20, v12
	v_and_b32_sdwa v9, v9, s14 dst_sel:DWORD dst_unused:UNUSED_PAD src0_sel:WORD_1 src1_sel:DWORD
	v_cndmask_b32_e64 v14, 0, 1, vcc
	v_cmp_gt_i32_e32 vcc, 1, v13
	v_or_b32_e32 v14, v21, v14
	v_lshrrev_b32_e32 v11, 16, v11
	v_cndmask_b32_e32 v12, v17, v12, vcc
	v_cmp_gt_i32_e32 vcc, 1, v15
	v_and_b32_e32 v16, 7, v12
	v_cmp_eq_u32_e64 s[0:1], 3, v16
	v_cndmask_b32_e32 v14, v19, v14, vcc
	v_cmp_lt_i32_e32 vcc, 5, v16
	v_lshrrev_b32_e32 v12, 2, v12
	v_and_b32_e32 v17, 7, v14
	s_or_b64 vcc, s[0:1], vcc
	v_cmp_lt_i32_e64 s[2:3], 5, v17
	v_cmp_eq_u32_e64 s[4:5], 3, v17
	v_addc_co_u32_e32 v12, vcc, 0, v12, vcc
	v_lshrrev_b32_e32 v14, 2, v14
	s_or_b64 vcc, s[4:5], s[2:3]
	v_addc_co_u32_e32 v14, vcc, 0, v14, vcc
	v_cmp_gt_i32_e32 vcc, 31, v13
	s_nop 1
	v_cndmask_b32_e32 v12, v6, v12, vcc
	v_cmp_gt_i32_e32 vcc, 31, v15
	s_nop 1
	v_cndmask_b32_e32 v14, v6, v14, vcc
	v_cmp_eq_u32_e32 vcc, s10, v13
	s_nop 1
	v_cndmask_b32_e32 v8, v12, v8, vcc
	v_cmp_eq_u32_e32 vcc, s10, v15
	v_bitop3_b32 v8, v9, s17, v8 bitop3:0xc8
	s_nop 0
	v_cndmask_b32_e32 v10, v14, v10, vcc
	v_and_or_b32 v10, v11, s14, v10
	v_lshl_or_b32 v8, v10, 16, v8
	global_store_dword v[4:5], v8, off
	global_load_dword v10, v[2:3], off offset:1728
	v_add_u32_e32 v8, 0x1600, v30
	ds_read2_b32 v[8:9], v8 offset0:48 offset1:160
	v_mad_u64_u32 v[4:5], s[0:1], s8, v7, v[4:5]
	v_add_u32_e32 v5, s11, v5
	s_waitcnt lgkmcnt(0)
	v_lshrrev_b32_e32 v11, 16, v8
	s_waitcnt vmcnt(0)
	v_mul_f16_sdwa v12, v11, v10 dst_sel:DWORD dst_unused:UNUSED_PAD src0_sel:DWORD src1_sel:WORD_1
	v_mul_f16_sdwa v13, v8, v10 dst_sel:DWORD dst_unused:UNUSED_PAD src0_sel:DWORD src1_sel:WORD_1
	v_fma_f16 v8, v8, v10, v12
	v_fma_f16 v10, v10, v11, -v13
	v_cvt_f32_f16_e32 v8, v8
	v_cvt_f32_f16_e32 v12, v10
	v_cvt_f64_f32_e32 v[10:11], v8
	v_cvt_f64_f32_e32 v[12:13], v12
	v_mul_f64 v[10:11], v[10:11], s[6:7]
	v_mul_f64 v[12:13], v[12:13], s[6:7]
	v_and_or_b32 v8, v11, s16, v10
	v_and_or_b32 v12, v13, s16, v12
	v_cmp_ne_u32_e32 vcc, 0, v8
	v_lshrrev_b32_e32 v10, 8, v11
	v_bfe_u32 v14, v11, 20, 11
	v_cndmask_b32_e64 v8, 0, 1, vcc
	v_cmp_ne_u32_e32 vcc, 0, v12
	v_lshrrev_b32_e32 v15, 8, v13
	v_bfe_u32 v16, v13, 20, 11
	v_sub_u32_e32 v17, 0x3f1, v14
	v_cndmask_b32_e64 v12, 0, 1, vcc
	v_and_or_b32 v8, v10, s15, v8
	v_sub_u32_e32 v18, 0x3f1, v16
	v_med3_i32 v10, v17, 0, 13
	v_and_or_b32 v12, v15, s15, v12
	v_or_b32_e32 v17, 0x1000, v8
	v_add_u32_e32 v14, 0xfffffc10, v14
	v_med3_i32 v15, v18, 0, 13
	v_cmp_ne_u32_e32 vcc, 0, v8
	v_or_b32_e32 v19, 0x1000, v12
	v_lshrrev_b32_e32 v21, v10, v17
	v_add_u32_e32 v16, 0xfffffc10, v16
	v_lshl_or_b32 v18, v14, 12, v8
	v_cndmask_b32_e64 v8, 0, 1, vcc
	v_cmp_ne_u32_e32 vcc, 0, v12
	v_lshrrev_b32_e32 v22, v15, v19
	v_lshlrev_b32_e32 v10, v10, v21
	v_lshl_or_b32 v20, v16, 12, v12
	v_cndmask_b32_e64 v12, 0, 1, vcc
	v_lshlrev_b32_e32 v15, v15, v22
	v_cmp_ne_u32_e32 vcc, v10, v17
	v_lshl_or_b32 v8, v8, 9, v6
	v_lshl_or_b32 v12, v12, 9, v6
	v_cndmask_b32_e64 v10, 0, 1, vcc
	v_cmp_ne_u32_e32 vcc, v15, v19
	v_or_b32_e32 v10, v21, v10
	v_and_b32_sdwa v11, v11, s14 dst_sel:DWORD dst_unused:UNUSED_PAD src0_sel:WORD_1 src1_sel:DWORD
	v_cndmask_b32_e64 v15, 0, 1, vcc
	v_cmp_gt_i32_e32 vcc, 1, v14
	v_or_b32_e32 v15, v22, v15
	v_lshrrev_b32_e32 v13, 16, v13
	v_cndmask_b32_e32 v10, v18, v10, vcc
	v_cmp_gt_i32_e32 vcc, 1, v16
	v_and_b32_e32 v17, 7, v10
	v_cmp_eq_u32_e64 s[0:1], 3, v17
	v_cndmask_b32_e32 v15, v20, v15, vcc
	v_cmp_lt_i32_e32 vcc, 5, v17
	v_lshrrev_b32_e32 v10, 2, v10
	v_and_b32_e32 v18, 7, v15
	s_or_b64 vcc, s[0:1], vcc
	v_cmp_lt_i32_e64 s[2:3], 5, v18
	v_cmp_eq_u32_e64 s[4:5], 3, v18
	v_addc_co_u32_e32 v10, vcc, 0, v10, vcc
	v_lshrrev_b32_e32 v15, 2, v15
	s_or_b64 vcc, s[4:5], s[2:3]
	v_addc_co_u32_e32 v15, vcc, 0, v15, vcc
	v_cmp_gt_i32_e32 vcc, 31, v14
	s_nop 1
	v_cndmask_b32_e32 v10, v6, v10, vcc
	v_cmp_gt_i32_e32 vcc, 31, v16
	s_nop 1
	v_cndmask_b32_e32 v15, v6, v15, vcc
	v_cmp_eq_u32_e32 vcc, s10, v14
	s_nop 1
	v_cndmask_b32_e32 v8, v10, v8, vcc
	v_cmp_eq_u32_e32 vcc, s10, v16
	v_bitop3_b32 v8, v11, s17, v8 bitop3:0xc8
	s_nop 0
	v_cndmask_b32_e32 v10, v15, v12, vcc
	v_and_or_b32 v10, v13, s14, v10
	v_lshl_or_b32 v8, v10, 16, v8
	global_store_dword v[4:5], v8, off
	global_load_dword v8, v[2:3], off offset:2176
	v_lshrrev_b32_e32 v10, 16, v9
	v_mad_u64_u32 v[4:5], s[0:1], s8, v7, v[4:5]
	v_add_u32_e32 v5, s11, v5
	s_waitcnt vmcnt(0)
	v_mul_f16_sdwa v11, v10, v8 dst_sel:DWORD dst_unused:UNUSED_PAD src0_sel:DWORD src1_sel:WORD_1
	v_mul_f16_sdwa v12, v9, v8 dst_sel:DWORD dst_unused:UNUSED_PAD src0_sel:DWORD src1_sel:WORD_1
	v_fma_f16 v9, v9, v8, v11
	v_fma_f16 v8, v8, v10, -v12
	v_cvt_f32_f16_e32 v9, v9
	v_cvt_f32_f16_e32 v10, v8
	v_cvt_f64_f32_e32 v[8:9], v9
	v_cvt_f64_f32_e32 v[10:11], v10
	v_mul_f64 v[8:9], v[8:9], s[6:7]
	v_mul_f64 v[10:11], v[10:11], s[6:7]
	v_and_or_b32 v8, v9, s16, v8
	v_and_or_b32 v10, v11, s16, v10
	v_cmp_ne_u32_e32 vcc, 0, v8
	v_lshrrev_b32_e32 v12, 8, v9
	v_bfe_u32 v13, v9, 20, 11
	v_cndmask_b32_e64 v8, 0, 1, vcc
	v_cmp_ne_u32_e32 vcc, 0, v10
	v_lshrrev_b32_e32 v14, 8, v11
	v_bfe_u32 v15, v11, 20, 11
	v_sub_u32_e32 v16, 0x3f1, v13
	v_cndmask_b32_e64 v10, 0, 1, vcc
	v_and_or_b32 v8, v12, s15, v8
	v_sub_u32_e32 v17, 0x3f1, v15
	v_med3_i32 v12, v16, 0, 13
	v_and_or_b32 v10, v14, s15, v10
	v_or_b32_e32 v16, 0x1000, v8
	v_add_u32_e32 v13, 0xfffffc10, v13
	v_med3_i32 v14, v17, 0, 13
	v_cmp_ne_u32_e32 vcc, 0, v8
	v_or_b32_e32 v18, 0x1000, v10
	v_lshrrev_b32_e32 v20, v12, v16
	v_add_u32_e32 v15, 0xfffffc10, v15
	v_lshl_or_b32 v17, v13, 12, v8
	v_cndmask_b32_e64 v8, 0, 1, vcc
	v_cmp_ne_u32_e32 vcc, 0, v10
	v_lshrrev_b32_e32 v21, v14, v18
	v_lshlrev_b32_e32 v12, v12, v20
	v_lshl_or_b32 v19, v15, 12, v10
	v_cndmask_b32_e64 v10, 0, 1, vcc
	v_lshlrev_b32_e32 v14, v14, v21
	v_cmp_ne_u32_e32 vcc, v12, v16
	v_lshl_or_b32 v8, v8, 9, v6
	v_lshl_or_b32 v10, v10, 9, v6
	v_cndmask_b32_e64 v12, 0, 1, vcc
	v_cmp_ne_u32_e32 vcc, v14, v18
	v_or_b32_e32 v12, v20, v12
	v_and_b32_sdwa v9, v9, s14 dst_sel:DWORD dst_unused:UNUSED_PAD src0_sel:WORD_1 src1_sel:DWORD
	v_cndmask_b32_e64 v14, 0, 1, vcc
	v_cmp_gt_i32_e32 vcc, 1, v13
	v_or_b32_e32 v14, v21, v14
	v_lshrrev_b32_e32 v11, 16, v11
	v_cndmask_b32_e32 v12, v17, v12, vcc
	v_cmp_gt_i32_e32 vcc, 1, v15
	v_and_b32_e32 v16, 7, v12
	v_cmp_eq_u32_e64 s[0:1], 3, v16
	v_cndmask_b32_e32 v14, v19, v14, vcc
	v_cmp_lt_i32_e32 vcc, 5, v16
	v_lshrrev_b32_e32 v12, 2, v12
	v_and_b32_e32 v17, 7, v14
	s_or_b64 vcc, s[0:1], vcc
	v_cmp_lt_i32_e64 s[2:3], 5, v17
	v_cmp_eq_u32_e64 s[4:5], 3, v17
	v_addc_co_u32_e32 v12, vcc, 0, v12, vcc
	v_lshrrev_b32_e32 v14, 2, v14
	s_or_b64 vcc, s[4:5], s[2:3]
	v_addc_co_u32_e32 v14, vcc, 0, v14, vcc
	v_cmp_gt_i32_e32 vcc, 31, v13
	s_nop 1
	v_cndmask_b32_e32 v12, v6, v12, vcc
	v_cmp_gt_i32_e32 vcc, 31, v15
	s_nop 1
	v_cndmask_b32_e32 v14, v6, v14, vcc
	v_cmp_eq_u32_e32 vcc, s10, v13
	s_nop 1
	v_cndmask_b32_e32 v8, v12, v8, vcc
	v_cmp_eq_u32_e32 vcc, s10, v15
	v_bitop3_b32 v8, v9, s17, v8 bitop3:0xc8
	v_or_b32_e32 v12, 0x700, v28
	v_cndmask_b32_e32 v10, v14, v10, vcc
	v_and_or_b32 v10, v11, s14, v10
	v_lshl_or_b32 v8, v10, 16, v8
	global_store_dword v[4:5], v8, off
	global_load_dword v8, v[2:3], off offset:2624
	v_add_u32_e32 v2, 0x1a00, v30
	ds_read2_b32 v[2:3], v2 offset0:16 offset1:128
	v_mad_u64_u32 v[4:5], s[0:1], s8, v7, v[4:5]
	v_add_u32_e32 v5, s11, v5
	v_lshlrev_b32_e32 v13, 2, v12
	s_waitcnt lgkmcnt(0)
	v_lshrrev_b32_e32 v9, 16, v2
	s_waitcnt vmcnt(0)
	v_mul_f16_sdwa v10, v9, v8 dst_sel:DWORD dst_unused:UNUSED_PAD src0_sel:DWORD src1_sel:WORD_1
	v_mul_f16_sdwa v11, v2, v8 dst_sel:DWORD dst_unused:UNUSED_PAD src0_sel:DWORD src1_sel:WORD_1
	v_fma_f16 v2, v2, v8, v10
	v_fma_f16 v8, v8, v9, -v11
	v_cvt_f32_f16_e32 v2, v2
	v_cvt_f32_f16_e32 v10, v8
	v_cvt_f64_f32_e32 v[8:9], v2
	v_cvt_f64_f32_e32 v[10:11], v10
	v_mul_f64 v[8:9], v[8:9], s[6:7]
	v_mul_f64 v[10:11], v[10:11], s[6:7]
	v_and_or_b32 v2, v9, s16, v8
	v_and_or_b32 v10, v11, s16, v10
	v_cmp_ne_u32_e32 vcc, 0, v2
	v_lshrrev_b32_e32 v7, 8, v9
	v_bfe_u32 v8, v9, 20, 11
	v_cndmask_b32_e64 v2, 0, 1, vcc
	v_cmp_ne_u32_e32 vcc, 0, v10
	v_lshrrev_b32_e32 v14, 8, v11
	v_bfe_u32 v15, v11, 20, 11
	v_sub_u32_e32 v16, 0x3f1, v8
	v_cndmask_b32_e64 v10, 0, 1, vcc
	v_and_or_b32 v2, v7, s15, v2
	v_sub_u32_e32 v17, 0x3f1, v15
	v_med3_i32 v7, v16, 0, 13
	v_and_or_b32 v10, v14, s15, v10
	v_or_b32_e32 v16, 0x1000, v2
	v_add_u32_e32 v8, 0xfffffc10, v8
	v_med3_i32 v14, v17, 0, 13
	v_cmp_ne_u32_e32 vcc, 0, v2
	v_or_b32_e32 v18, 0x1000, v10
	v_lshrrev_b32_e32 v20, v7, v16
	v_add_u32_e32 v15, 0xfffffc10, v15
	v_lshl_or_b32 v17, v8, 12, v2
	v_cndmask_b32_e64 v2, 0, 1, vcc
	v_cmp_ne_u32_e32 vcc, 0, v10
	v_lshrrev_b32_e32 v21, v14, v18
	v_lshlrev_b32_e32 v7, v7, v20
	v_lshl_or_b32 v19, v15, 12, v10
	v_cndmask_b32_e64 v10, 0, 1, vcc
	v_lshlrev_b32_e32 v14, v14, v21
	v_cmp_ne_u32_e32 vcc, v7, v16
	v_lshl_or_b32 v2, v2, 9, v6
	v_lshl_or_b32 v10, v10, 9, v6
	v_cndmask_b32_e64 v7, 0, 1, vcc
	v_cmp_ne_u32_e32 vcc, v14, v18
	v_or_b32_e32 v7, v20, v7
	v_and_b32_sdwa v9, v9, s14 dst_sel:DWORD dst_unused:UNUSED_PAD src0_sel:WORD_1 src1_sel:DWORD
	v_cndmask_b32_e64 v14, 0, 1, vcc
	v_cmp_gt_i32_e32 vcc, 1, v8
	v_or_b32_e32 v14, v21, v14
	v_lshrrev_b32_e32 v11, 16, v11
	v_cndmask_b32_e32 v7, v17, v7, vcc
	v_cmp_gt_i32_e32 vcc, 1, v15
	v_and_b32_e32 v16, 7, v7
	v_cmp_eq_u32_e64 s[0:1], 3, v16
	v_cndmask_b32_e32 v14, v19, v14, vcc
	v_cmp_lt_i32_e32 vcc, 5, v16
	v_lshrrev_b32_e32 v7, 2, v7
	v_and_b32_e32 v17, 7, v14
	s_or_b64 vcc, s[0:1], vcc
	v_cmp_lt_i32_e64 s[2:3], 5, v17
	v_cmp_eq_u32_e64 s[4:5], 3, v17
	v_addc_co_u32_e32 v7, vcc, 0, v7, vcc
	v_lshrrev_b32_e32 v14, 2, v14
	s_or_b64 vcc, s[4:5], s[2:3]
	v_addc_co_u32_e32 v14, vcc, 0, v14, vcc
	v_cmp_gt_i32_e32 vcc, 31, v8
	s_nop 1
	v_cndmask_b32_e32 v7, v6, v7, vcc
	v_cmp_gt_i32_e32 vcc, 31, v15
	s_nop 1
	v_cndmask_b32_e32 v14, v6, v14, vcc
	v_cmp_eq_u32_e32 vcc, s10, v8
	s_nop 1
	v_cndmask_b32_e32 v2, v7, v2, vcc
	v_cmp_eq_u32_e32 vcc, s10, v15
	v_bitop3_b32 v2, v9, s17, v2 bitop3:0xc8
	s_nop 0
	v_cndmask_b32_e32 v7, v14, v10, vcc
	v_and_or_b32 v7, v11, s14, v7
	v_lshl_or_b32 v2, v7, 16, v2
	global_store_dword v[4:5], v2, off
	global_load_dword v7, v13, s[12:13]
	v_mad_u64_u32 v[4:5], s[0:1], s8, v12, 0
	v_mov_b32_e32 v2, v5
	v_lshrrev_b32_e32 v5, 16, v3
	s_waitcnt vmcnt(0)
	v_mul_f16_sdwa v8, v5, v7 dst_sel:DWORD dst_unused:UNUSED_PAD src0_sel:DWORD src1_sel:WORD_1
	v_mul_f16_sdwa v9, v3, v7 dst_sel:DWORD dst_unused:UNUSED_PAD src0_sel:DWORD src1_sel:WORD_1
	v_fma_f16 v3, v3, v7, v8
	v_fma_f16 v5, v7, v5, -v9
	v_cvt_f32_f16_e32 v7, v3
	v_cvt_f32_f16_e32 v8, v5
	v_mad_u64_u32 v[2:3], s[0:1], s9, v12, v[2:3]
	v_mov_b32_e32 v5, v2
	v_cvt_f64_f32_e32 v[2:3], v7
	v_cvt_f64_f32_e32 v[8:9], v8
	v_mul_f64 v[2:3], v[2:3], s[6:7]
	v_mul_f64 v[8:9], v[8:9], s[6:7]
	v_and_or_b32 v2, v3, s16, v2
	v_and_or_b32 v8, v9, s16, v8
	v_cmp_ne_u32_e32 vcc, 0, v2
	v_lshrrev_b32_e32 v7, 8, v3
	v_bfe_u32 v10, v3, 20, 11
	v_cndmask_b32_e64 v2, 0, 1, vcc
	v_cmp_ne_u32_e32 vcc, 0, v8
	v_lshrrev_b32_e32 v11, 8, v9
	v_bfe_u32 v12, v9, 20, 11
	v_sub_u32_e32 v13, 0x3f1, v10
	v_cndmask_b32_e64 v8, 0, 1, vcc
	v_and_or_b32 v2, v7, s15, v2
	v_sub_u32_e32 v14, 0x3f1, v12
	v_med3_i32 v7, v13, 0, 13
	v_and_or_b32 v8, v11, s15, v8
	v_or_b32_e32 v13, 0x1000, v2
	v_add_u32_e32 v10, 0xfffffc10, v10
	v_med3_i32 v11, v14, 0, 13
	v_cmp_ne_u32_e32 vcc, 0, v2
	v_or_b32_e32 v15, 0x1000, v8
	v_lshrrev_b32_e32 v17, v7, v13
	v_add_u32_e32 v12, 0xfffffc10, v12
	v_lshl_or_b32 v14, v10, 12, v2
	v_cndmask_b32_e64 v2, 0, 1, vcc
	v_cmp_ne_u32_e32 vcc, 0, v8
	v_lshrrev_b32_e32 v18, v11, v15
	v_lshlrev_b32_e32 v7, v7, v17
	v_lshl_or_b32 v16, v12, 12, v8
	v_cndmask_b32_e64 v8, 0, 1, vcc
	v_lshlrev_b32_e32 v11, v11, v18
	v_cmp_ne_u32_e32 vcc, v7, v13
	v_lshl_or_b32 v2, v2, 9, v6
	v_lshl_or_b32 v8, v8, 9, v6
	v_cndmask_b32_e64 v7, 0, 1, vcc
	v_cmp_ne_u32_e32 vcc, v11, v15
	v_or_b32_e32 v7, v17, v7
	v_and_b32_sdwa v3, v3, s14 dst_sel:DWORD dst_unused:UNUSED_PAD src0_sel:WORD_1 src1_sel:DWORD
	v_cndmask_b32_e64 v11, 0, 1, vcc
	v_cmp_gt_i32_e32 vcc, 1, v10
	v_or_b32_e32 v11, v18, v11
	v_lshrrev_b32_e32 v9, 16, v9
	v_cndmask_b32_e32 v7, v14, v7, vcc
	v_cmp_gt_i32_e32 vcc, 1, v12
	v_and_b32_e32 v13, 7, v7
	v_cmp_eq_u32_e64 s[0:1], 3, v13
	v_cndmask_b32_e32 v11, v16, v11, vcc
	v_cmp_lt_i32_e32 vcc, 5, v13
	v_lshrrev_b32_e32 v7, 2, v7
	v_and_b32_e32 v14, 7, v11
	s_or_b64 vcc, s[0:1], vcc
	v_cmp_lt_i32_e64 s[2:3], 5, v14
	v_cmp_eq_u32_e64 s[4:5], 3, v14
	v_addc_co_u32_e32 v7, vcc, 0, v7, vcc
	v_lshrrev_b32_e32 v11, 2, v11
	s_or_b64 vcc, s[4:5], s[2:3]
	v_addc_co_u32_e32 v11, vcc, 0, v11, vcc
	v_cmp_gt_i32_e32 vcc, 31, v10
	v_lshl_add_u64 v[0:1], v[4:5], 2, v[0:1]
	s_nop 0
	v_cndmask_b32_e32 v7, v6, v7, vcc
	v_cmp_gt_i32_e32 vcc, 31, v12
	s_nop 1
	v_cndmask_b32_e32 v6, v6, v11, vcc
	v_cmp_eq_u32_e32 vcc, s10, v10
	s_nop 1
	v_cndmask_b32_e32 v2, v7, v2, vcc
	v_cmp_eq_u32_e32 vcc, s10, v12
	v_bitop3_b32 v2, v3, s17, v2 bitop3:0xc8
	s_nop 0
	v_cndmask_b32_e32 v6, v6, v8, vcc
	v_and_or_b32 v6, v9, s14, v6
	v_lshl_or_b32 v2, v6, 16, v2
	global_store_dword v[0:1], v2, off
.LBB0_23:
	s_endpgm
	.section	.rodata,"a",@progbits
	.p2align	6, 0x0
	.amdhsa_kernel bluestein_single_fwd_len1904_dim1_half_op_CI_CI
		.amdhsa_group_segment_fixed_size 7616
		.amdhsa_private_segment_fixed_size 0
		.amdhsa_kernarg_size 104
		.amdhsa_user_sgpr_count 2
		.amdhsa_user_sgpr_dispatch_ptr 0
		.amdhsa_user_sgpr_queue_ptr 0
		.amdhsa_user_sgpr_kernarg_segment_ptr 1
		.amdhsa_user_sgpr_dispatch_id 0
		.amdhsa_user_sgpr_kernarg_preload_length 0
		.amdhsa_user_sgpr_kernarg_preload_offset 0
		.amdhsa_user_sgpr_private_segment_size 0
		.amdhsa_uses_dynamic_stack 0
		.amdhsa_enable_private_segment 0
		.amdhsa_system_sgpr_workgroup_id_x 1
		.amdhsa_system_sgpr_workgroup_id_y 0
		.amdhsa_system_sgpr_workgroup_id_z 0
		.amdhsa_system_sgpr_workgroup_info 0
		.amdhsa_system_vgpr_workitem_id 0
		.amdhsa_next_free_vgpr 288
		.amdhsa_next_free_sgpr 35
		.amdhsa_accum_offset 256
		.amdhsa_reserve_vcc 1
		.amdhsa_float_round_mode_32 0
		.amdhsa_float_round_mode_16_64 0
		.amdhsa_float_denorm_mode_32 3
		.amdhsa_float_denorm_mode_16_64 3
		.amdhsa_dx10_clamp 1
		.amdhsa_ieee_mode 1
		.amdhsa_fp16_overflow 0
		.amdhsa_tg_split 0
		.amdhsa_exception_fp_ieee_invalid_op 0
		.amdhsa_exception_fp_denorm_src 0
		.amdhsa_exception_fp_ieee_div_zero 0
		.amdhsa_exception_fp_ieee_overflow 0
		.amdhsa_exception_fp_ieee_underflow 0
		.amdhsa_exception_fp_ieee_inexact 0
		.amdhsa_exception_int_div_zero 0
	.end_amdhsa_kernel
	.text
.Lfunc_end0:
	.size	bluestein_single_fwd_len1904_dim1_half_op_CI_CI, .Lfunc_end0-bluestein_single_fwd_len1904_dim1_half_op_CI_CI
                                        ; -- End function
	.section	.AMDGPU.csdata,"",@progbits
; Kernel info:
; codeLenInByte = 34680
; NumSgprs: 41
; NumVgprs: 256
; NumAgprs: 32
; TotalNumVgprs: 288
; ScratchSize: 0
; MemoryBound: 0
; FloatMode: 240
; IeeeMode: 1
; LDSByteSize: 7616 bytes/workgroup (compile time only)
; SGPRBlocks: 5
; VGPRBlocks: 35
; NumSGPRsForWavesPerEU: 41
; NumVGPRsForWavesPerEU: 288
; AccumOffset: 256
; Occupancy: 1
; WaveLimiterHint : 1
; COMPUTE_PGM_RSRC2:SCRATCH_EN: 0
; COMPUTE_PGM_RSRC2:USER_SGPR: 2
; COMPUTE_PGM_RSRC2:TRAP_HANDLER: 0
; COMPUTE_PGM_RSRC2:TGID_X_EN: 1
; COMPUTE_PGM_RSRC2:TGID_Y_EN: 0
; COMPUTE_PGM_RSRC2:TGID_Z_EN: 0
; COMPUTE_PGM_RSRC2:TIDIG_COMP_CNT: 0
; COMPUTE_PGM_RSRC3_GFX90A:ACCUM_OFFSET: 63
; COMPUTE_PGM_RSRC3_GFX90A:TG_SPLIT: 0
	.text
	.p2alignl 6, 3212836864
	.fill 256, 4, 3212836864
	.type	__hip_cuid_806e49b67eedc36,@object ; @__hip_cuid_806e49b67eedc36
	.section	.bss,"aw",@nobits
	.globl	__hip_cuid_806e49b67eedc36
__hip_cuid_806e49b67eedc36:
	.byte	0                               ; 0x0
	.size	__hip_cuid_806e49b67eedc36, 1

	.ident	"AMD clang version 19.0.0git (https://github.com/RadeonOpenCompute/llvm-project roc-6.4.0 25133 c7fe45cf4b819c5991fe208aaa96edf142730f1d)"
	.section	".note.GNU-stack","",@progbits
	.addrsig
	.addrsig_sym __hip_cuid_806e49b67eedc36
	.amdgpu_metadata
---
amdhsa.kernels:
  - .agpr_count:     32
    .args:
      - .actual_access:  read_only
        .address_space:  global
        .offset:         0
        .size:           8
        .value_kind:     global_buffer
      - .actual_access:  read_only
        .address_space:  global
        .offset:         8
        .size:           8
        .value_kind:     global_buffer
      - .actual_access:  read_only
        .address_space:  global
        .offset:         16
        .size:           8
        .value_kind:     global_buffer
      - .actual_access:  read_only
        .address_space:  global
        .offset:         24
        .size:           8
        .value_kind:     global_buffer
      - .actual_access:  read_only
        .address_space:  global
        .offset:         32
        .size:           8
        .value_kind:     global_buffer
      - .offset:         40
        .size:           8
        .value_kind:     by_value
      - .address_space:  global
        .offset:         48
        .size:           8
        .value_kind:     global_buffer
      - .address_space:  global
        .offset:         56
        .size:           8
        .value_kind:     global_buffer
      - .address_space:  global
        .offset:         64
        .size:           8
        .value_kind:     global_buffer
      - .address_space:  global
        .offset:         72
        .size:           8
        .value_kind:     global_buffer
      - .offset:         80
        .size:           4
        .value_kind:     by_value
      - .address_space:  global
        .offset:         88
        .size:           8
        .value_kind:     global_buffer
      - .address_space:  global
        .offset:         96
        .size:           8
        .value_kind:     global_buffer
    .group_segment_fixed_size: 7616
    .kernarg_segment_align: 8
    .kernarg_segment_size: 104
    .language:       OpenCL C
    .language_version:
      - 2
      - 0
    .max_flat_workgroup_size: 119
    .name:           bluestein_single_fwd_len1904_dim1_half_op_CI_CI
    .private_segment_fixed_size: 0
    .sgpr_count:     41
    .sgpr_spill_count: 0
    .symbol:         bluestein_single_fwd_len1904_dim1_half_op_CI_CI.kd
    .uniform_work_group_size: 1
    .uses_dynamic_stack: false
    .vgpr_count:     288
    .vgpr_spill_count: 0
    .wavefront_size: 64
amdhsa.target:   amdgcn-amd-amdhsa--gfx950
amdhsa.version:
  - 1
  - 2
...

	.end_amdgpu_metadata
